;; amdgpu-corpus repo=ROCm/rocFFT kind=compiled arch=gfx950 opt=O3
	.text
	.amdgcn_target "amdgcn-amd-amdhsa--gfx950"
	.amdhsa_code_object_version 6
	.protected	fft_rtc_fwd_len289_factors_17_17_wgs_119_tpt_17_sp_op_CI_CI_sbrc_z_xy_aligned_dirReg ; -- Begin function fft_rtc_fwd_len289_factors_17_17_wgs_119_tpt_17_sp_op_CI_CI_sbrc_z_xy_aligned_dirReg
	.globl	fft_rtc_fwd_len289_factors_17_17_wgs_119_tpt_17_sp_op_CI_CI_sbrc_z_xy_aligned_dirReg
	.p2align	8
	.type	fft_rtc_fwd_len289_factors_17_17_wgs_119_tpt_17_sp_op_CI_CI_sbrc_z_xy_aligned_dirReg,@function
fft_rtc_fwd_len289_factors_17_17_wgs_119_tpt_17_sp_op_CI_CI_sbrc_z_xy_aligned_dirReg: ; @fft_rtc_fwd_len289_factors_17_17_wgs_119_tpt_17_sp_op_CI_CI_sbrc_z_xy_aligned_dirReg
; %bb.0:
	s_load_dwordx8 s[4:11], s[0:1], 0x0
	v_mov_b32_e32 v56, v0
	s_mov_b32 s29, 0
	v_mov_b32_e32 v153, 0
	s_mov_b32 s26, 0xbf2c7751
	s_waitcnt lgkmcnt(0)
	s_load_dwordx4 s[12:15], s[8:9], 0x8
	s_mov_b32 s27, 0x3f3d2fb0
	s_mov_b32 s58, s27
	;; [unrolled: 1-line block ×4, first 2 shown]
	s_waitcnt lgkmcnt(0)
	s_add_i32 s3, s12, -1
	s_mul_hi_u32 s8, s3, 0x24924925
	s_sub_i32 s3, s3, s8
	s_lshr_b32 s3, s3, 1
	s_add_i32 s3, s3, s8
	s_lshr_b32 s3, s3, 2
	s_add_i32 s8, s3, 1
	s_mul_i32 s9, s8, s14
	v_cvt_f32_u32_e32 v1, s9
	v_cvt_f32_u32_e32 v0, s8
	s_sub_i32 s16, 0, s9
	s_load_dwordx4 s[12:15], s[10:11], 0x0
	v_rcp_iflag_f32_e32 v1, v1
	v_rcp_iflag_f32_e32 v0, v0
	s_waitcnt lgkmcnt(0)
	s_load_dword s15, s[10:11], 0x10
	s_mov_b32 s39, 0x3ee437d1
	v_mul_f32_e32 v1, 0x4f7ffffe, v1
	v_cvt_u32_f32_e32 v1, v1
	v_mul_f32_e32 v0, 0x4f7ffffe, v0
	v_cvt_u32_f32_e32 v0, v0
	s_mov_b32 s36, s39
	v_readfirstlane_b32 s18, v1
	s_mul_i32 s16, s16, s18
	s_mul_hi_u32 s16, s18, s16
	s_add_i32 s18, s18, s16
	s_mul_hi_u32 s16, s2, s18
	s_mul_i32 s18, s16, s9
	s_sub_i32 s18, s2, s18
	s_add_i32 s19, s16, 1
	s_sub_i32 s20, s18, s9
	s_cmp_ge_u32 s18, s9
	s_cselect_b32 s16, s19, s16
	s_cselect_b32 s18, s20, s18
	s_add_i32 s19, s16, 1
	s_cmp_ge_u32 s18, s9
	v_readfirstlane_b32 s17, v0
	s_cselect_b32 s33, s19, s16
	s_not_b32 s3, s3
	s_mul_i32 s3, s3, s17
	s_mul_i32 s9, s33, s9
	s_mul_hi_u32 s3, s17, s3
	s_sub_i32 s9, s2, s9
	s_add_i32 s17, s17, s3
	s_mul_hi_u32 s3, s9, s17
	s_mul_i32 s16, s3, s8
	s_sub_i32 s9, s9, s16
	s_add_i32 s18, s3, 1
	s_sub_i32 s16, s9, s8
	s_cmp_ge_u32 s9, s8
	s_cselect_b32 s3, s18, s3
	s_cselect_b32 s9, s16, s9
	s_add_i32 s16, s3, 1
	s_cmp_ge_u32 s9, s8
	s_cselect_b32 s74, s16, s3
	s_mul_hi_u32 s3, s2, s17
	s_mul_i32 s3, s3, s8
	s_sub_i32 s2, s2, s3
	s_sub_i32 s3, s2, s8
	s_cmp_ge_u32 s2, s8
	s_cselect_b32 s2, s3, s2
	s_sub_i32 s3, s2, s8
	s_cmp_ge_u32 s2, s8
	s_cselect_b32 s2, s3, s2
	s_mul_i32 s30, s2, 7
	s_waitcnt lgkmcnt(0)
	s_mul_i32 s3, s74, s15
	s_mul_i32 s2, s30, s14
	s_add_i32 s28, s2, s3
	s_lshl_b64 s[8:9], s[6:7], 3
	s_add_u32 s2, s10, s8
	s_addc_u32 s3, s11, s9
	s_load_dwordx2 s[10:11], s[2:3], 0x0
	s_load_dwordx2 s[6:7], s[0:1], 0x20
	v_add_u16_e32 v0, 0x77, v56
	s_mov_b32 s16, 0xbeb8f4ab
	s_mov_b32 s17, 0x3f6eb680
	s_waitcnt lgkmcnt(0)
	s_mul_i32 s2, s11, s33
	s_mul_hi_u32 s3, s10, s33
	s_add_i32 s11, s3, s2
	s_add_u32 s8, s6, s8
	s_addc_u32 s9, s7, s9
	s_load_dwordx2 s[34:35], s[8:9], 0x0
	s_mul_i32 s10, s10, s33
	s_load_dwordx4 s[0:3], s[0:1], 0x58
	s_mov_b32 s50, s17
	s_mov_b32 s51, s16
	s_waitcnt lgkmcnt(0)
	s_mul_i32 s8, s35, s33
	s_mul_hi_u32 s9, s34, s33
	s_add_i32 s35, s9, s8
	v_mad_u64_u32 v[2:3], s[8:9], s12, v56, 0
	v_mov_b32_e32 v4, v3
	v_mad_u64_u32 v[4:5], s[8:9], s13, v56, v[4:5]
	s_lshl_b64 s[8:9], s[10:11], 3
	s_add_u32 s8, s0, s8
	s_addc_u32 s9, s1, s9
	s_lshl_b64 s[0:1], s[28:29], 3
	s_add_u32 s0, s8, s0
	v_mov_b32_e32 v3, v4
	s_addc_u32 s1, s9, s1
	v_lshl_add_u64 v[10:11], v[2:3], 3, s[0:1]
	v_mad_u64_u32 v[2:3], s[8:9], s12, v0, 0
	v_mov_b32_e32 v4, v3
	v_mad_u64_u32 v[4:5], s[8:9], s13, v0, v[4:5]
	s_mov_b32 s8, 0x16500ee
	s_nop 0
	v_pk_add_u16 v0, v56, s8 op_sel_hi:[0,1]
	v_mov_b32_e32 v3, v4
	v_and_b32_e32 v1, 0x1ff, v0
	s_movk_i32 s9, 0x717
	v_lshl_add_u64 v[12:13], v[2:3], 3, s[0:1]
	v_mul_u32_u24_e32 v1, 0x717, v1
	v_mul_u32_u24_sdwa v2, v0, s9 dst_sel:DWORD dst_unused:UNUSED_PAD src0_sel:WORD_1 src1_sel:DWORD
	v_lshrrev_b32_e32 v1, 19, v1
	v_lshrrev_b32_e32 v6, 19, v2
	s_mov_b32 s8, 0x5040100
	v_perm_b32 v27, v6, v1, s8
	s_movk_i32 s28, 0x121
	v_pk_mul_lo_u16 v2, v27, s28 op_sel_hi:[1,0]
	v_mul_lo_u32 v152, s14, v1
	v_pk_sub_i16 v0, v0, v2
	s_mov_b32 s37, s38
	v_and_b32_e32 v5, 0xffff, v0
	v_mad_u64_u32 v[2:3], s[10:11], s12, v5, 0
	v_mov_b32_e32 v4, v3
	v_mad_u64_u32 v[4:5], s[10:11], s13, v5, v[4:5]
	v_mov_b32_e32 v3, v4
	v_lshl_add_u64 v[2:3], v[2:3], 3, s[0:1]
	v_lshrrev_b32_e32 v1, 16, v0
	v_lshl_add_u64 v[14:15], v[152:153], 3, v[2:3]
	v_mad_u64_u32 v[2:3], s[10:11], s12, v1, 0
	v_mov_b32_e32 v4, v3
	v_mad_u64_u32 v[4:5], s[10:11], s13, v1, v[4:5]
	v_mov_b32_e32 v3, v4
	s_mov_b32 s10, 0x25301dc
	v_mul_lo_u32 v152, s14, v6
	v_lshl_add_u64 v[2:3], v[2:3], 3, s[0:1]
	v_pk_add_u16 v1, v56, s10 op_sel_hi:[0,1]
	v_lshl_add_u64 v[16:17], v[152:153], 3, v[2:3]
	global_load_dwordx2 v[8:9], v[10:11], off
	global_load_dwordx2 v[6:7], v[12:13], off
	;; [unrolled: 1-line block ×4, first 2 shown]
	v_and_b32_e32 v10, 0x3ff, v1
	v_mul_u32_u24_e32 v10, 0x717, v10
	v_lshrrev_b32_e32 v14, 19, v10
	v_mul_u32_u24_sdwa v10, v1, s9 dst_sel:DWORD dst_unused:UNUSED_PAD src0_sel:WORD_1 src1_sel:DWORD
	v_lshrrev_b32_e32 v16, 19, v10
	v_perm_b32 v46, v16, v14, s8
	v_pk_mul_lo_u16 v10, v46, s28 op_sel_hi:[1,0]
	v_mul_lo_u32 v152, s14, v14
	v_pk_sub_i16 v1, v1, v10
	v_pk_mad_u16 v0, v0, 7, v27 op_sel_hi:[1,0,1]
	v_and_b32_e32 v13, 0xffff, v1
	v_mad_u64_u32 v[10:11], s[10:11], s12, v13, 0
	v_mov_b32_e32 v12, v11
	v_mad_u64_u32 v[12:13], s[10:11], s13, v13, v[12:13]
	v_lshrrev_b32_e32 v15, 16, v1
	v_mov_b32_e32 v11, v12
	v_mad_u64_u32 v[12:13], s[10:11], s12, v15, 0
	v_mov_b32_e32 v14, v13
	v_mad_u64_u32 v[14:15], s[10:11], s13, v15, v[14:15]
	s_mov_b32 s10, 0x34102ca
	v_mov_b32_e32 v13, v14
	v_pk_add_u16 v14, v56, s10 op_sel_hi:[0,1]
	v_and_b32_e32 v15, 0x3ff, v14
	v_mul_u32_u24_e32 v15, 0x717, v15
	v_lshrrev_b32_e32 v18, 19, v15
	v_mul_u32_u24_sdwa v15, v14, s9 dst_sel:DWORD dst_unused:UNUSED_PAD src0_sel:WORD_1 src1_sel:DWORD
	v_lshrrev_b32_e32 v20, 19, v15
	v_perm_b32 v47, v20, v18, s8
	v_pk_mul_lo_u16 v15, v47, s28 op_sel_hi:[1,0]
	v_lshl_add_u64 v[10:11], v[10:11], 3, s[0:1]
	v_pk_sub_i16 v48, v14, v15
	v_lshl_add_u64 v[10:11], v[152:153], 3, v[10:11]
	v_and_b32_e32 v17, 0xffff, v48
	v_mad_u64_u32 v[14:15], s[10:11], s12, v17, 0
	v_mul_lo_u32 v152, s14, v16
	v_mov_b32_e32 v16, v15
	v_mad_u64_u32 v[16:17], s[10:11], s13, v17, v[16:17]
	v_lshrrev_b32_e32 v19, 16, v48
	v_lshl_add_u64 v[12:13], v[12:13], 3, s[0:1]
	v_mov_b32_e32 v15, v16
	v_mad_u64_u32 v[16:17], s[10:11], s12, v19, 0
	v_lshl_add_u64 v[12:13], v[152:153], 3, v[12:13]
	v_mul_lo_u32 v152, s14, v18
	v_mov_b32_e32 v18, v17
	v_mad_u64_u32 v[18:19], s[10:11], s13, v19, v[18:19]
	v_lshl_add_u64 v[14:15], v[14:15], 3, s[0:1]
	v_mov_b32_e32 v17, v18
	v_lshl_add_u64 v[14:15], v[152:153], 3, v[14:15]
	v_mul_lo_u32 v152, s14, v20
	v_lshl_add_u64 v[16:17], v[16:17], 3, s[0:1]
	s_mov_b32 s9, 0x42f03b8
	v_lshl_add_u64 v[16:17], v[152:153], 3, v[16:17]
	global_load_dwordx2 v[18:19], v[10:11], off
	global_load_dwordx2 v[20:21], v[12:13], off
	;; [unrolled: 1-line block ×4, first 2 shown]
	v_pk_add_u16 v10, v56, s9 op_sel_hi:[0,1]
	v_and_b32_e32 v11, 0x7ff, v10
	v_mul_u32_u24_e32 v11, 0x717, v11
	s_movk_i32 s9, 0xe2d
	v_lshrrev_b32_e32 v14, 19, v11
	v_mul_u32_u24_sdwa v11, v10, s9 dst_sel:DWORD dst_unused:UNUSED_PAD src0_sel:WORD_1 src1_sel:DWORD
	v_lshrrev_b32_e32 v16, 20, v11
	v_perm_b32 v49, v16, v14, s8
	v_pk_mul_lo_u16 v11, v49, s28 op_sel_hi:[1,0]
	v_mul_lo_u32 v152, s14, v14
	v_pk_sub_i16 v50, v10, v11
	s_mov_b32 s20, 0xbf7ee86f
	v_and_b32_e32 v13, 0xffff, v50
	v_mad_u64_u32 v[10:11], s[10:11], s12, v13, 0
	v_mov_b32_e32 v12, v11
	v_mad_u64_u32 v[12:13], s[10:11], s13, v13, v[12:13]
	v_lshrrev_b32_e32 v15, 16, v50
	v_mov_b32_e32 v11, v12
	v_mad_u64_u32 v[12:13], s[10:11], s12, v15, 0
	v_mov_b32_e32 v14, v13
	v_mad_u64_u32 v[14:15], s[10:11], s13, v15, v[14:15]
	s_mov_b32 s10, 0x51d04a6
	v_mov_b32_e32 v13, v14
	v_pk_add_u16 v14, v56, s10 op_sel_hi:[0,1]
	v_and_b32_e32 v15, 0x5ff, v14
	v_mul_u32_u24_e32 v15, 0xe2d, v15
	v_lshrrev_b32_e32 v26, 20, v15
	v_mul_u32_u24_sdwa v15, v14, s9 dst_sel:DWORD dst_unused:UNUSED_PAD src0_sel:WORD_1 src1_sel:DWORD
	v_lshrrev_b32_e32 v30, 20, v15
	v_perm_b32 v51, v30, v26, s8
	v_pk_mul_lo_u16 v15, v51, s28 op_sel_hi:[1,0]
	v_lshl_add_u64 v[10:11], v[10:11], 3, s[0:1]
	v_pk_sub_i16 v52, v14, v15
	v_lshl_add_u64 v[10:11], v[152:153], 3, v[10:11]
	v_and_b32_e32 v17, 0xffff, v52
	v_mad_u64_u32 v[14:15], s[10:11], s12, v17, 0
	v_mul_lo_u32 v152, s14, v16
	v_mov_b32_e32 v16, v15
	v_mad_u64_u32 v[16:17], s[10:11], s13, v17, v[16:17]
	v_lshrrev_b32_e32 v28, 16, v52
	v_lshl_add_u64 v[12:13], v[12:13], 3, s[0:1]
	v_mov_b32_e32 v15, v16
	v_mad_u64_u32 v[16:17], s[10:11], s12, v28, 0
	v_lshl_add_u64 v[12:13], v[152:153], 3, v[12:13]
	v_mul_lo_u32 v152, s14, v26
	v_mov_b32_e32 v26, v17
	v_mad_u64_u32 v[28:29], s[10:11], s13, v28, v[26:27]
	v_lshl_add_u64 v[14:15], v[14:15], 3, s[0:1]
	v_mov_b32_e32 v17, v28
	v_lshl_add_u64 v[14:15], v[152:153], 3, v[14:15]
	v_mul_lo_u32 v152, s14, v30
	v_lshl_add_u64 v[16:17], v[16:17], 3, s[0:1]
	s_mov_b32 s10, 0x60b0594
	v_lshl_add_u64 v[16:17], v[152:153], 3, v[16:17]
	global_load_dwordx2 v[30:31], v[10:11], off
	global_load_dwordx2 v[32:33], v[12:13], off
	;; [unrolled: 1-line block ×4, first 2 shown]
	v_pk_add_u16 v10, v56, s10 op_sel_hi:[0,1]
	v_and_b32_e32 v11, 0x7ff, v10
	v_mul_u32_u24_e32 v11, 0xe2d, v11
	v_lshrrev_b32_e32 v14, 20, v11
	v_mul_u32_u24_sdwa v11, v10, s9 dst_sel:DWORD dst_unused:UNUSED_PAD src0_sel:WORD_1 src1_sel:DWORD
	v_lshrrev_b32_e32 v16, 20, v11
	v_perm_b32 v53, v16, v14, s8
	v_pk_mul_lo_u16 v11, v53, s28 op_sel_hi:[1,0]
	v_mul_lo_u32 v152, s14, v14
	v_pk_sub_i16 v54, v10, v11
	s_mov_b32 s21, 0x3dbcf732
	v_and_b32_e32 v13, 0xffff, v54
	v_mad_u64_u32 v[10:11], s[10:11], s12, v13, 0
	v_mov_b32_e32 v12, v11
	v_mad_u64_u32 v[12:13], s[10:11], s13, v13, v[12:13]
	v_lshrrev_b32_e32 v15, 16, v54
	v_mov_b32_e32 v11, v12
	v_mad_u64_u32 v[12:13], s[10:11], s12, v15, 0
	v_mov_b32_e32 v14, v13
	v_mad_u64_u32 v[14:15], s[10:11], s13, v15, v[14:15]
	s_mov_b32 s10, 0x6f90682
	v_mov_b32_e32 v13, v14
	v_pk_add_u16 v14, v56, s10 op_sel_hi:[0,1]
	v_and_b32_e32 v15, 0x7ff, v14
	v_mul_u32_u24_e32 v15, 0xe2d, v15
	v_lshrrev_b32_e32 v26, 20, v15
	v_mul_u32_u24_sdwa v15, v14, s9 dst_sel:DWORD dst_unused:UNUSED_PAD src0_sel:WORD_1 src1_sel:DWORD
	v_lshrrev_b32_e32 v38, 20, v15
	v_perm_b32 v55, v38, v26, s8
	v_pk_mul_lo_u16 v15, v55, s28 op_sel_hi:[1,0]
	v_lshl_add_u64 v[10:11], v[10:11], 3, s[0:1]
	v_pk_sub_i16 v57, v14, v15
	v_lshl_add_u64 v[10:11], v[152:153], 3, v[10:11]
	v_and_b32_e32 v17, 0xffff, v57
	v_mad_u64_u32 v[14:15], s[8:9], s12, v17, 0
	v_mul_lo_u32 v152, s14, v16
	v_mov_b32_e32 v16, v15
	v_mad_u64_u32 v[16:17], s[8:9], s13, v17, v[16:17]
	v_lshrrev_b32_e32 v28, 16, v57
	v_lshl_add_u64 v[12:13], v[12:13], 3, s[0:1]
	v_mov_b32_e32 v15, v16
	v_mad_u64_u32 v[16:17], s[8:9], s12, v28, 0
	v_lshl_add_u64 v[12:13], v[152:153], 3, v[12:13]
	v_mul_lo_u32 v152, s14, v26
	v_mov_b32_e32 v26, v17
	v_mad_u64_u32 v[28:29], s[8:9], s13, v28, v[26:27]
	v_lshl_add_u64 v[14:15], v[14:15], 3, s[0:1]
	v_mov_b32_e32 v17, v28
	v_lshl_add_u64 v[14:15], v[152:153], 3, v[14:15]
	v_mul_lo_u32 v152, s14, v38
	v_lshl_add_u64 v[16:17], v[16:17], 3, s[0:1]
	v_lshl_add_u64 v[16:17], v[152:153], 3, v[16:17]
	global_load_dwordx2 v[38:39], v[10:11], off
	global_load_dwordx2 v[40:41], v[12:13], off
	;; [unrolled: 1-line block ×4, first 2 shown]
	v_add_u16_e32 v10, 0x770, v56
	v_mul_u32_u24_e32 v11, 0x717, v10
	v_lshrrev_b32_e32 v14, 19, v11
	v_mul_lo_u16_e32 v11, 0x121, v14
	v_sub_u16_e32 v15, v10, v11
	v_mad_u64_u32 v[10:11], s[8:9], s12, v15, 0
	v_mov_b32_e32 v12, v11
	v_mad_u64_u32 v[12:13], s[8:9], s13, v15, v[12:13]
	v_mov_b32_e32 v11, v12
	v_mul_lo_u32 v152, s14, v14
	v_lshl_add_u64 v[10:11], v[10:11], 3, s[0:1]
	v_lshl_add_u64 v[10:11], v[152:153], 3, v[10:11]
	global_load_dwordx2 v[10:11], v[10:11], off
	v_mul_u32_u24_e32 v12, 0x2493, v56
	v_lshrrev_b32_e32 v216, 16, v12
	v_mul_lo_u16_e32 v12, 7, v216
	v_sub_u16_e32 v110, v56, v12
	v_mul_lo_u16_e32 v12, 7, v56
	v_lshl_add_u32 v12, v12, 3, 0
	s_waitcnt vmcnt(16)
	ds_write_b64 v12, v[8:9]
	v_mov_b32_e32 v8, 0x341
	v_mad_legacy_u16 v8, v56, 7, v8
	v_lshl_add_u32 v8, v8, 3, 0
	s_waitcnt vmcnt(15)
	ds_write_b64 v8, v[6:7]
	v_and_b32_e32 v6, 0xffff, v0
	v_bfe_u32 v0, v0, 16, 16
	v_lshl_add_u32 v6, v6, 3, 0
	v_lshl_add_u32 v0, v0, 3, 0
	s_waitcnt vmcnt(14)
	ds_write_b64 v6, v[2:3]
	s_waitcnt vmcnt(13)
	ds_write_b64 v0, v[4:5]
	v_pk_mad_u16 v0, v1, 7, v46 op_sel_hi:[1,0,1]
	s_load_dwordx4 s[8:11], s[6:7], 0x0
	v_and_b32_e32 v1, 0xffff, v0
	v_bfe_u32 v0, v0, 16, 16
	v_lshl_add_u32 v1, v1, 3, 0
	v_lshl_add_u32 v0, v0, 3, 0
	s_waitcnt vmcnt(12)
	ds_write_b64 v1, v[18:19]
	s_waitcnt vmcnt(11)
	ds_write_b64 v0, v[20:21]
	v_pk_mad_u16 v0, v48, 7, v47 op_sel_hi:[1,0,1]
	s_waitcnt lgkmcnt(0)
	s_load_dword s11, s[6:7], 0x10
	v_and_b32_e32 v1, 0xffff, v0
	v_bfe_u32 v0, v0, 16, 16
	v_lshl_add_u32 v1, v1, 3, 0
	v_lshl_add_u32 v0, v0, 3, 0
	s_waitcnt vmcnt(10)
	ds_write_b64 v1, v[22:23]
	s_waitcnt vmcnt(9)
	ds_write_b64 v0, v[24:25]
	v_pk_mad_u16 v0, v50, 7, v49 op_sel_hi:[1,0,1]
	s_mov_b32 s56, s21
	v_and_b32_e32 v1, 0xffff, v0
	v_bfe_u32 v0, v0, 16, 16
	v_lshl_add_u32 v1, v1, 3, 0
	v_lshl_add_u32 v0, v0, 3, 0
	s_waitcnt vmcnt(8)
	ds_write_b64 v1, v[30:31]
	s_waitcnt vmcnt(7)
	ds_write_b64 v0, v[32:33]
	v_pk_mad_u16 v0, v52, 7, v51 op_sel_hi:[1,0,1]
	s_mov_b32 s57, s20
	v_and_b32_e32 v1, 0xffff, v0
	v_bfe_u32 v0, v0, 16, 16
	v_lshl_add_u32 v1, v1, 3, 0
	v_lshl_add_u32 v0, v0, 3, 0
	s_waitcnt vmcnt(6)
	ds_write_b64 v1, v[34:35]
	s_waitcnt vmcnt(5)
	ds_write_b64 v0, v[36:37]
	v_pk_mad_u16 v0, v54, 7, v53 op_sel_hi:[1,0,1]
	s_mov_b32 s0, 0xbf763a35
	v_and_b32_e32 v1, 0xffff, v0
	v_bfe_u32 v0, v0, 16, 16
	v_lshl_add_u32 v1, v1, 3, 0
	v_lshl_add_u32 v0, v0, 3, 0
	s_mov_b32 s1, 0xbe8c1d8e
	s_mov_b32 s48, s1
	;; [unrolled: 1-line block ×3, first 2 shown]
                                        ; kill: killed $sgpr6 killed $sgpr7
	s_mov_b32 s6, 0xbf4c4adb
	s_mov_b32 s7, 0xbf1a4643
	;; [unrolled: 1-line block ×3, first 2 shown]
	s_waitcnt vmcnt(4)
	ds_write_b64 v1, v[38:39]
	s_waitcnt vmcnt(3)
	ds_write_b64 v0, v[40:41]
	v_pk_mad_u16 v0, v57, 7, v55 op_sel_hi:[1,0,1]
	s_mov_b32 s53, s6
	v_and_b32_e32 v1, 0xffff, v0
	v_bfe_u32 v0, v0, 16, 16
	v_lshl_add_u32 v1, v1, 3, 0
	v_lshl_add_u32 v0, v0, 3, 0
	s_waitcnt vmcnt(2)
	ds_write_b64 v1, v[42:43]
	s_waitcnt vmcnt(1)
	ds_write_b64 v0, v[44:45]
	v_mad_legacy_u16 v0, v15, 7, v14
	v_lshl_add_u32 v0, v0, 3, 0
	v_lshlrev_b32_e32 v1, 3, v110
	s_mov_b32 s12, 0xbf06c442
	s_mov_b32 s13, 0xbf59a7d5
	;; [unrolled: 1-line block ×5, first 2 shown]
	s_waitcnt vmcnt(0)
	ds_write_b64 v0, v[10:11]
	v_mul_u32_u24_e32 v0, 56, v216
	v_add3_u32 v214, 0, v0, v1
	v_add_u32_e32 v0, 0x1400, v214
	s_waitcnt lgkmcnt(0)
	s_barrier
	ds_read2_b64 v[6:9], v0 offset0:74 offset1:193
	v_accvgpr_write_b32 a1, v0
	v_add_u32_e32 v111, 0x1c00, v214
	v_add_u32_e32 v152, 0x2400, v214
	;; [unrolled: 1-line block ×4, first 2 shown]
	ds_read2_b64 v[10:13], v111 offset0:56 offset1:175
	ds_read2_b64 v[14:17], v152 offset0:38 offset1:157
	;; [unrolled: 1-line block ×3, first 2 shown]
	v_accvgpr_write_b32 a0, v0
	ds_read2_b64 v[22:25], v57 offset0:130 offset1:249
	ds_read_b64 v[38:39], v214 offset:15232
	ds_read2_b64 v[62:65], v214 offset1:119
	v_add_u32_e32 v0, 0x400, v214
	ds_read2_b64 v[30:33], v0 offset0:110 offset1:229
	v_add_u32_e32 v215, 0xc00, v214
	ds_read2_b64 v[34:37], v215 offset0:92 offset1:211
	s_waitcnt lgkmcnt(2)
	v_pk_add_f32 v[42:43], v[62:63], v[64:65]
	v_pk_add_f32 v[66:67], v[16:17], v[6:7]
	s_waitcnt lgkmcnt(1)
	v_pk_add_f32 v[42:43], v[42:43], v[30:31]
	v_pk_add_f32 v[2:3], v[6:7], v[16:17] neg_lo:[0,1] neg_hi:[0,1]
	v_pk_add_f32 v[42:43], v[42:43], v[32:33]
	v_pk_add_f32 v[108:109], v[14:15], v[8:9]
	s_waitcnt lgkmcnt(0)
	v_pk_add_f32 v[42:43], v[42:43], v[34:35]
	v_pk_add_f32 v[46:47], v[8:9], v[14:15] neg_lo:[0,1] neg_hi:[0,1]
	v_pk_add_f32 v[42:43], v[42:43], v[36:37]
	v_pk_add_f32 v[40:41], v[38:39], v[64:65]
	;; [unrolled: 1-line block ×3, first 2 shown]
	v_mov_b32_e32 v101, v41
	v_pk_add_f32 v[6:7], v[6:7], v[8:9]
	v_pk_add_f32 v[8:9], v[64:65], v[38:39] neg_lo:[0,1] neg_hi:[0,1]
	v_pk_add_f32 v[6:7], v[6:7], v[10:11]
	v_mov_b32_e32 v41, v8
	v_pk_add_f32 v[6:7], v[6:7], v[12:13]
	v_pk_add_f32 v[68:69], v[12:13], v[10:11]
	;; [unrolled: 1-line block ×3, first 2 shown]
	v_pk_add_f32 v[52:53], v[10:11], v[12:13] neg_lo:[0,1] neg_hi:[0,1]
	v_pk_add_f32 v[4:5], v[4:5], v[16:17]
	v_pk_add_f32 v[14:15], v[24:25], v[30:31]
	;; [unrolled: 1-line block ×3, first 2 shown]
	v_pk_add_f32 v[12:13], v[30:31], v[24:25] neg_lo:[0,1] neg_hi:[0,1]
	v_pk_add_f32 v[4:5], v[4:5], v[20:21]
	v_mov_b32_e32 v100, v9
	v_pk_add_f32 v[4:5], v[4:5], v[22:23]
	v_mov_b32_e32 v103, v15
	;; [unrolled: 2-line block ×3, first 2 shown]
	v_pk_add_f32 v[0:1], v[4:5], v[38:39]
	v_pk_mul_f32 v[4:5], v[40:41], s[50:51]
	v_pk_add_f32 v[92:93], v[22:23], v[32:33]
	v_accvgpr_write_b32 a2, v4
	v_pk_add_f32 v[6:7], v[32:33], v[22:23] neg_lo:[0,1] neg_hi:[0,1]
	v_pk_fma_f32 v[10:11], v[100:101], s[16:17], v[4:5] neg_lo:[1,0,0] neg_hi:[1,0,0]
	v_pk_fma_f32 v[96:97], v[100:101], s[16:17], v[4:5]
	v_accvgpr_write_b32 a3, v5
	v_pk_mul_f32 v[4:5], v[14:15], s[58:59]
	v_mov_b32_e32 v102, v13
	v_accvgpr_write_b32 a4, v4
	v_mov_b32_e32 v27, v93
	v_mov_b32_e32 v93, v6
	v_pk_add_f32 v[80:81], v[20:21], v[34:35]
	v_pk_add_f32 v[34:35], v[34:35], v[20:21] neg_lo:[0,1] neg_hi:[0,1]
	v_mov_b32_e32 v11, v97
	v_pk_fma_f32 v[20:21], v[102:103], s[26:27], v[4:5] neg_lo:[1,0,0] neg_hi:[1,0,0]
	v_pk_fma_f32 v[90:91], v[102:103], s[26:27], v[4:5]
	v_accvgpr_write_b32 a5, v5
	v_mov_b32_e32 v26, v7
	v_pk_mul_f32 v[4:5], v[92:93], s[36:37]
	v_pk_add_f32 v[16:17], v[62:63], v[10:11]
	v_mov_b32_e32 v21, v91
	v_pk_fma_f32 v[24:25], v[26:27], s[38:39], v[4:5] neg_lo:[1,0,0] neg_hi:[1,0,0]
	v_pk_fma_f32 v[86:87], v[26:27], s[38:39], v[4:5]
	v_pk_add_f32 v[22:23], v[20:21], v[16:17]
	v_mov_b32_e32 v25, v87
	v_accvgpr_write_b32 a7, v5
	v_pk_add_f32 v[32:33], v[24:25], v[22:23]
	v_mov_b32_e32 v23, v81
	v_mov_b32_e32 v81, v34
	v_accvgpr_write_b32 a6, v4
	v_mov_b32_e32 v22, v35
	v_pk_mul_f32 v[4:5], v[80:81], s[56:57]
	v_pk_add_f32 v[78:79], v[18:19], v[36:37]
	v_pk_fma_f32 v[34:35], v[22:23], s[20:21], v[4:5] neg_lo:[1,0,0] neg_hi:[1,0,0]
	v_pk_fma_f32 v[82:83], v[22:23], s[20:21], v[4:5]
	v_pk_add_f32 v[36:37], v[36:37], v[18:19] neg_lo:[0,1] neg_hi:[0,1]
	v_mov_b32_e32 v35, v83
	v_accvgpr_write_b32 a9, v5
	v_pk_add_f32 v[38:39], v[34:35], v[32:33]
	v_mov_b32_e32 v33, v79
	v_mov_b32_e32 v79, v36
	v_accvgpr_write_b32 a8, v4
	v_mov_b32_e32 v32, v37
	v_pk_mul_f32 v[4:5], v[78:79], s[48:49]
	s_mov_b32 s23, 0xbf7ba420
	v_pk_fma_f32 v[42:43], v[32:33], s[0:1], v[4:5] neg_lo:[1,0,0] neg_hi:[1,0,0]
	v_pk_fma_f32 v[76:77], v[32:33], s[0:1], v[4:5]
	s_mov_b32 s60, s23
	v_mov_b32_e32 v43, v77
	v_pk_add_f32 v[44:45], v[42:43], v[38:39]
	v_mov_b32_e32 v39, v67
	v_mov_b32_e32 v67, v2
	;; [unrolled: 1-line block ×3, first 2 shown]
	v_pk_mul_f32 v[2:3], v[66:67], s[52:53]
	s_mov_b32 s61, s22
	v_pk_fma_f32 v[48:49], v[38:39], s[6:7], v[2:3] neg_lo:[1,0,0] neg_hi:[1,0,0]
	v_pk_fma_f32 v[64:65], v[38:39], s[6:7], v[2:3]
	v_accvgpr_write_b32 a13, v3
	v_mov_b32_e32 v49, v65
	v_pk_add_f32 v[50:51], v[48:49], v[44:45]
	v_mov_b32_e32 v45, v109
	v_mov_b32_e32 v109, v46
	v_accvgpr_write_b32 a12, v2
	v_mov_b32_e32 v44, v47
	v_pk_mul_f32 v[2:3], v[108:109], s[54:55]
	s_movk_i32 s14, 0x380
	v_pk_fma_f32 v[54:55], v[44:45], s[12:13], v[2:3] neg_lo:[1,0,0] neg_hi:[1,0,0]
	v_pk_fma_f32 v[48:49], v[44:45], s[12:13], v[2:3]
	v_accvgpr_write_b32 a15, v3
	v_mov_b32_e32 v55, v49
	v_pk_add_f32 v[58:59], v[54:55], v[50:51]
	v_mov_b32_e32 v51, v69
	v_mov_b32_e32 v69, v52
	v_accvgpr_write_b32 a14, v2
	v_mov_b32_e32 v50, v53
	v_pk_mul_f32 v[2:3], v[68:69], s[60:61]
	v_mad_u32_u24 v217, v216, s14, v214
	v_pk_fma_f32 v[60:61], v[50:51], s[22:23], v[2:3] neg_lo:[1,0,0] neg_hi:[1,0,0]
	v_pk_fma_f32 v[52:53], v[50:51], s[22:23], v[2:3]
	s_nop 0
	v_mov_b32_e32 v61, v53
	v_pk_add_f32 v[58:59], v[60:61], v[58:59]
	s_barrier
	ds_write2_b64 v217, v[0:1], v[58:59] offset1:7
	v_pk_mul_f32 v[0:1], v[40:41], s[58:59]
	s_mov_b32 s44, 0x3f06c442
	v_accvgpr_write_b32 a19, v1
	v_pk_fma_f32 v[70:71], v[100:101], s[26:27], v[0:1] neg_lo:[1,0,0] neg_hi:[1,0,0]
	v_pk_fma_f32 v[212:213], v[100:101], s[26:27], v[0:1]
	v_accvgpr_write_b32 a18, v0
	v_pk_mul_f32 v[0:1], v[14:15], s[56:57]
	v_mov_b32_e32 v71, v213
	v_pk_fma_f32 v[72:73], v[102:103], s[20:21], v[0:1] neg_lo:[1,0,0] neg_hi:[1,0,0]
	v_pk_fma_f32 v[58:59], v[102:103], s[20:21], v[0:1]
	v_accvgpr_write_b32 a21, v1
	v_accvgpr_write_b32 a20, v0
	v_mov_b32_e32 v73, v59
	v_pk_add_f32 v[70:71], v[62:63], v[70:71]
	v_pk_mul_f32 v[0:1], v[92:93], s[52:53]
	v_pk_add_f32 v[72:73], v[72:73], v[70:71]
	v_pk_fma_f32 v[74:75], v[26:27], s[6:7], v[0:1] neg_lo:[1,0,0] neg_hi:[1,0,0]
	v_pk_fma_f32 v[70:71], v[26:27], s[6:7], v[0:1]
	v_accvgpr_write_b32 a23, v1
	v_accvgpr_write_b32 a22, v0
	v_mov_b32_e32 v75, v71
	v_pk_mul_f32 v[0:1], v[80:81], s[60:61]
	v_pk_add_f32 v[74:75], v[74:75], v[72:73]
	v_pk_fma_f32 v[84:85], v[22:23], s[22:23], v[0:1] neg_lo:[1,0,0] neg_hi:[1,0,0]
	v_pk_fma_f32 v[72:73], v[22:23], s[22:23], v[0:1]
	v_accvgpr_write_b32 a25, v1
	s_mov_b32 s70, s13
	s_mov_b32 s71, s44
	v_accvgpr_write_b32 a24, v0
	v_mov_b32_e32 v85, v73
	s_mov_b32 s45, s13
	v_pk_mul_f32 v[0:1], v[78:79], s[70:71]
	s_mov_b32 s40, 0x3f763a35
	v_pk_add_f32 v[84:85], v[84:85], v[74:75]
	v_pk_fma_f32 v[88:89], v[32:33], s[44:45], v[0:1] neg_lo:[1,0,0] neg_hi:[1,0,0]
	v_pk_fma_f32 v[74:75], v[32:33], s[44:45], v[0:1]
	v_accvgpr_write_b32 a27, v1
	s_mov_b32 s68, s1
	s_mov_b32 s69, s40
	v_accvgpr_write_b32 a26, v0
	v_mov_b32_e32 v89, v75
	s_mov_b32 s41, s1
	v_pk_mul_f32 v[0:1], v[66:67], s[68:69]
	s_mov_b32 s14, 0x3f65296c
	;; [unrolled: 11-line block ×3, first 2 shown]
	v_pk_add_f32 v[94:95], v[94:95], v[88:89]
	v_pk_fma_f32 v[98:99], v[44:45], s[14:15], v[0:1] neg_lo:[1,0,0] neg_hi:[1,0,0]
	v_pk_fma_f32 v[88:89], v[44:45], s[14:15], v[0:1]
	v_accvgpr_write_b32 a31, v1
	s_mov_b32 s64, s17
	s_mov_b32 s65, s18
	v_accvgpr_write_b32 a30, v0
	v_mov_b32_e32 v99, v89
	s_mov_b32 s19, s17
	v_pk_mul_f32 v[0:1], v[68:69], s[64:65]
	v_pk_add_f32 v[104:105], v[98:99], v[94:95]
	v_pk_fma_f32 v[106:107], v[50:51], s[18:19], v[0:1] neg_lo:[1,0,0] neg_hi:[1,0,0]
	v_pk_fma_f32 v[94:95], v[50:51], s[18:19], v[0:1]
	v_pk_mul_f32 v[98:99], v[40:41], s[36:37]
	v_mov_b32_e32 v107, v95
	v_pk_add_f32 v[136:137], v[106:107], v[104:105]
	v_pk_fma_f32 v[112:113], v[100:101], s[38:39], v[98:99] neg_lo:[1,0,0] neg_hi:[1,0,0]
	v_pk_fma_f32 v[104:105], v[100:101], s[38:39], v[98:99]
	v_pk_mul_f32 v[60:61], v[14:15], s[52:53]
	s_mov_b32 s46, 0x3e3c28d5
	v_mov_b32_e32 v113, v105
	v_pk_fma_f32 v[114:115], v[102:103], s[6:7], v[60:61] neg_lo:[1,0,0] neg_hi:[1,0,0]
	v_pk_fma_f32 v[106:107], v[102:103], s[6:7], v[60:61]
	s_mov_b32 s24, s23
	s_mov_b32 s25, s46
	v_mov_b32_e32 v115, v107
	v_pk_add_f32 v[112:113], v[62:63], v[112:113]
	s_mov_b32 s47, s23
	v_pk_mul_f32 v[120:121], v[92:93], s[24:25]
	v_pk_add_f32 v[114:115], v[114:115], v[112:113]
	v_pk_fma_f32 v[116:117], v[26:27], s[46:47], v[120:121] neg_lo:[1,0,0] neg_hi:[1,0,0]
	v_pk_fma_f32 v[112:113], v[26:27], s[46:47], v[120:121]
	v_pk_mul_f32 v[122:123], v[80:81], s[68:69]
	v_mov_b32_e32 v117, v113
	s_mov_b32 s24, 0x3f2c7751
	v_pk_add_f32 v[116:117], v[116:117], v[114:115]
	v_pk_fma_f32 v[118:119], v[22:23], s[40:41], v[122:123] neg_lo:[1,0,0] neg_hi:[1,0,0]
	v_pk_fma_f32 v[114:115], v[22:23], s[40:41], v[122:123]
	s_mov_b32 s66, s27
	s_mov_b32 s67, s24
	v_mov_b32_e32 v119, v115
	s_mov_b32 s25, s27
	v_pk_mul_f32 v[128:129], v[78:79], s[66:67]
	v_pk_add_f32 v[118:119], v[118:119], v[116:117]
	v_pk_fma_f32 v[124:125], v[32:33], s[24:25], v[128:129] neg_lo:[1,0,0] neg_hi:[1,0,0]
	v_pk_fma_f32 v[116:117], v[32:33], s[24:25], v[128:129]
	v_pk_mul_f32 v[130:131], v[66:67], s[50:51]
	v_mov_b32_e32 v125, v117
	v_pk_add_f32 v[124:125], v[124:125], v[118:119]
	v_pk_fma_f32 v[126:127], v[38:39], s[16:17], v[130:131] neg_lo:[1,0,0] neg_hi:[1,0,0]
	v_pk_fma_f32 v[118:119], v[38:39], s[16:17], v[130:131]
	v_pk_mul_f32 v[132:133], v[108:109], s[56:57]
	v_mov_b32_e32 v127, v119
	;; [unrolled: 5-line block ×3, first 2 shown]
	v_pk_add_f32 v[138:139], v[134:135], v[126:127]
	v_pk_mul_f32 v[134:135], v[68:69], s[54:55]
	v_pk_fma_f32 v[146:147], v[102:103], s[22:23], v[142:143] neg_lo:[1,0,0] neg_hi:[1,0,0]
	v_pk_fma_f32 v[140:141], v[50:51], s[12:13], v[134:135] neg_lo:[1,0,0] neg_hi:[1,0,0]
	v_pk_fma_f32 v[126:127], v[50:51], s[12:13], v[134:135]
	v_pk_mul_f32 v[54:55], v[92:93], s[68:69]
	v_mov_b32_e32 v141, v127
	v_pk_add_f32 v[138:139], v[140:141], v[138:139]
	v_pk_mul_f32 v[140:141], v[40:41], s[56:57]
	ds_write2_b64 v217, v[136:137], v[138:139] offset0:14 offset1:21
	v_pk_fma_f32 v[144:145], v[100:101], s[20:21], v[140:141] neg_lo:[1,0,0] neg_hi:[1,0,0]
	v_pk_fma_f32 v[136:137], v[100:101], s[20:21], v[140:141]
	v_pk_fma_f32 v[138:139], v[102:103], s[22:23], v[142:143]
	v_mov_b32_e32 v145, v137
	v_mov_b32_e32 v147, v139
	v_pk_add_f32 v[144:145], v[62:63], v[144:145]
	v_pk_fma_f32 v[148:149], v[26:27], s[40:41], v[54:55] neg_lo:[1,0,0] neg_hi:[1,0,0]
	v_pk_add_f32 v[146:147], v[146:147], v[144:145]
	v_pk_fma_f32 v[144:145], v[26:27], s[40:41], v[54:55]
	v_pk_mul_f32 v[154:155], v[80:81], s[64:65]
	v_mov_b32_e32 v149, v145
	v_pk_add_f32 v[148:149], v[148:149], v[146:147]
	v_pk_fma_f32 v[150:151], v[22:23], s[18:19], v[154:155] neg_lo:[1,0,0] neg_hi:[1,0,0]
	v_pk_fma_f32 v[146:147], v[22:23], s[18:19], v[154:155]
	v_pk_mul_f32 v[158:159], v[78:79], s[36:37]
	v_mov_b32_e32 v151, v147
	v_pk_add_f32 v[150:151], v[150:151], v[148:149]
	v_pk_fma_f32 v[156:157], v[32:33], s[38:39], v[158:159] neg_lo:[1,0,0] neg_hi:[1,0,0]
	v_pk_fma_f32 v[148:149], v[32:33], s[38:39], v[158:159]
	v_pk_mul_f32 v[160:161], v[66:67], s[54:55]
	v_mov_b32_e32 v157, v149
	s_mov_b32 s42, 0x3f4c4adb
	v_pk_add_f32 v[156:157], v[156:157], v[150:151]
	v_pk_fma_f32 v[162:163], v[38:39], s[12:13], v[160:161] neg_lo:[1,0,0] neg_hi:[1,0,0]
	v_pk_fma_f32 v[150:151], v[38:39], s[12:13], v[160:161]
	s_mov_b32 s72, s7
	s_mov_b32 s73, s42
	v_mov_b32_e32 v163, v151
	s_mov_b32 s43, s7
	v_pk_mul_f32 v[164:165], v[108:109], s[72:73]
	v_pk_add_f32 v[162:163], v[162:163], v[156:157]
	v_pk_fma_f32 v[166:167], v[44:45], s[42:43], v[164:165] neg_lo:[1,0,0] neg_hi:[1,0,0]
	v_pk_fma_f32 v[156:157], v[44:45], s[42:43], v[164:165]
	v_pk_mul_f32 v[172:173], v[40:41], s[48:49]
	v_mov_b32_e32 v167, v157
	v_pk_add_f32 v[168:169], v[166:167], v[162:163]
	v_pk_mul_f32 v[166:167], v[68:69], s[66:67]
	v_pk_fma_f32 v[176:177], v[100:101], s[0:1], v[172:173] neg_lo:[1,0,0] neg_hi:[1,0,0]
	v_pk_fma_f32 v[170:171], v[50:51], s[24:25], v[166:167] neg_lo:[1,0,0] neg_hi:[1,0,0]
	v_pk_fma_f32 v[162:163], v[50:51], s[24:25], v[166:167]
	v_pk_mul_f32 v[174:175], v[14:15], s[70:71]
	v_mov_b32_e32 v171, v163
	v_pk_add_f32 v[200:201], v[170:171], v[168:169]
	v_pk_fma_f32 v[168:169], v[100:101], s[0:1], v[172:173]
	v_pk_fma_f32 v[178:179], v[102:103], s[44:45], v[174:175] neg_lo:[1,0,0] neg_hi:[1,0,0]
	v_mov_b32_e32 v177, v169
	v_pk_fma_f32 v[170:171], v[102:103], s[44:45], v[174:175]
	v_pk_add_f32 v[176:177], v[62:63], v[176:177]
	v_mov_b32_e32 v179, v171
	v_pk_mul_f32 v[184:185], v[92:93], s[66:67]
	v_pk_add_f32 v[178:179], v[178:179], v[176:177]
	v_pk_fma_f32 v[180:181], v[26:27], s[24:25], v[184:185] neg_lo:[1,0,0] neg_hi:[1,0,0]
	v_pk_fma_f32 v[176:177], v[26:27], s[24:25], v[184:185]
	v_pk_mul_f32 v[186:187], v[80:81], s[36:37]
	v_mov_b32_e32 v181, v177
	v_pk_add_f32 v[180:181], v[180:181], v[178:179]
	v_pk_fma_f32 v[182:183], v[22:23], s[38:39], v[186:187] neg_lo:[1,0,0] neg_hi:[1,0,0]
	v_pk_fma_f32 v[178:179], v[22:23], s[38:39], v[186:187]
	v_pk_mul_f32 v[190:191], v[78:79], s[60:61]
	v_mov_b32_e32 v183, v179
	s_mov_b32 s36, 0x3f7ee86f
	v_pk_add_f32 v[182:183], v[182:183], v[180:181]
	v_pk_fma_f32 v[188:189], v[32:33], s[22:23], v[190:191] neg_lo:[1,0,0] neg_hi:[1,0,0]
	v_pk_fma_f32 v[180:181], v[32:33], s[22:23], v[190:191]
	s_mov_b32 s70, s21
	s_mov_b32 s71, s36
	v_mov_b32_e32 v189, v181
	s_mov_b32 s37, s21
	v_pk_mul_f32 v[194:195], v[66:67], s[70:71]
	v_pk_add_f32 v[188:189], v[188:189], v[182:183]
	v_pk_fma_f32 v[192:193], v[38:39], s[36:37], v[194:195] neg_lo:[1,0,0] neg_hi:[1,0,0]
	v_pk_fma_f32 v[182:183], v[38:39], s[36:37], v[194:195]
	v_pk_mul_f32 v[196:197], v[108:109], s[50:51]
	v_mov_b32_e32 v193, v183
	v_pk_add_f32 v[192:193], v[192:193], v[188:189]
	v_pk_fma_f32 v[198:199], v[44:45], s[16:17], v[196:197] neg_lo:[1,0,0] neg_hi:[1,0,0]
	v_pk_fma_f32 v[188:189], v[44:45], s[16:17], v[196:197]
	v_pk_mul_f32 v[206:207], v[14:15], s[68:69]
	v_mov_b32_e32 v199, v189
	v_pk_add_f32 v[202:203], v[198:199], v[192:193]
	v_pk_mul_f32 v[198:199], v[68:69], s[52:53]
	v_pk_fma_f32 v[210:211], v[102:103], s[40:41], v[206:207] neg_lo:[1,0,0] neg_hi:[1,0,0]
	v_pk_fma_f32 v[204:205], v[50:51], s[6:7], v[198:199] neg_lo:[1,0,0] neg_hi:[1,0,0]
	v_pk_fma_f32 v[192:193], v[50:51], s[6:7], v[198:199]
	v_pk_mul_f32 v[218:219], v[92:93], s[50:51]
	v_mov_b32_e32 v205, v193
	v_pk_add_f32 v[202:203], v[204:205], v[202:203]
	v_pk_mul_f32 v[204:205], v[40:41], s[52:53]
	ds_write2_b64 v217, v[200:201], v[202:203] offset0:28 offset1:35
	v_pk_fma_f32 v[208:209], v[100:101], s[6:7], v[204:205] neg_lo:[1,0,0] neg_hi:[1,0,0]
	v_pk_fma_f32 v[200:201], v[100:101], s[6:7], v[204:205]
	v_pk_fma_f32 v[202:203], v[102:103], s[40:41], v[206:207]
	v_mov_b32_e32 v209, v201
	v_mov_b32_e32 v211, v203
	v_pk_add_f32 v[208:209], v[62:63], v[208:209]
	v_pk_fma_f32 v[220:221], v[26:27], s[16:17], v[218:219] neg_lo:[1,0,0] neg_hi:[1,0,0]
	v_pk_add_f32 v[210:211], v[210:211], v[208:209]
	v_pk_fma_f32 v[208:209], v[26:27], s[16:17], v[218:219]
	v_pk_mul_f32 v[222:223], v[80:81], s[54:55]
	v_mov_b32_e32 v221, v209
	v_pk_add_f32 v[220:221], v[220:221], v[210:211]
	v_pk_fma_f32 v[224:225], v[22:23], s[12:13], v[222:223] neg_lo:[1,0,0] neg_hi:[1,0,0]
	v_pk_fma_f32 v[210:211], v[22:23], s[12:13], v[222:223]
	v_pk_mul_f32 v[246:247], v[14:15], s[62:63]
	v_mov_b32_e32 v225, v211
	v_pk_add_f32 v[220:221], v[224:225], v[220:221]
	v_pk_mul_f32 v[224:225], v[78:79], s[70:71]
	v_pk_fma_f32 v[248:249], v[102:103], s[14:15], v[246:247] neg_lo:[1,0,0] neg_hi:[1,0,0]
	v_pk_fma_f32 v[226:227], v[32:33], s[36:37], v[224:225] neg_lo:[1,0,0] neg_hi:[1,0,0]
	v_pk_fma_f32 v[228:229], v[32:33], s[36:37], v[224:225]
	v_pk_fma_f32 v[250:251], v[102:103], s[14:15], v[246:247]
	v_mov_b32_e32 v227, v229
	v_pk_add_f32 v[220:221], v[226:227], v[220:221]
	v_pk_mul_f32 v[226:227], v[66:67], s[58:59]
	v_mov_b32_e32 v249, v251
	v_pk_fma_f32 v[230:231], v[38:39], s[26:27], v[226:227] neg_lo:[1,0,0] neg_hi:[1,0,0]
	v_pk_fma_f32 v[232:233], v[38:39], s[26:27], v[226:227]
	v_accvgpr_write_b32 a33, v1
	v_mov_b32_e32 v231, v233
	v_pk_add_f32 v[220:221], v[230:231], v[220:221]
	v_pk_mul_f32 v[230:231], v[108:109], s[60:61]
	v_accvgpr_write_b32 a32, v0
	v_pk_fma_f32 v[234:235], v[44:45], s[22:23], v[230:231] neg_lo:[1,0,0] neg_hi:[1,0,0]
	v_pk_fma_f32 v[236:237], v[44:45], s[22:23], v[230:231]
	v_accvgpr_write_b32 a17, v3
	v_mov_b32_e32 v235, v237
	v_pk_add_f32 v[220:221], v[234:235], v[220:221]
	v_pk_mul_f32 v[234:235], v[68:69], s[62:63]
	v_accvgpr_write_b32 a16, v2
	v_pk_fma_f32 v[238:239], v[50:51], s[14:15], v[234:235] neg_lo:[1,0,0] neg_hi:[1,0,0]
	v_pk_fma_f32 v[240:241], v[50:51], s[14:15], v[234:235]
	v_pk_mul_f32 v[46:47], v[66:67], s[60:61]
	v_mov_b32_e32 v239, v241
	v_pk_add_f32 v[220:221], v[238:239], v[220:221]
	v_pk_mul_f32 v[238:239], v[40:41], s[54:55]
	v_pk_fma_f32 v[20:21], v[38:39], s[22:23], v[46:47]
	v_pk_fma_f32 v[242:243], v[100:101], s[12:13], v[238:239] neg_lo:[1,0,0] neg_hi:[1,0,0]
	v_pk_fma_f32 v[244:245], v[100:101], s[12:13], v[238:239]
	v_pk_mul_f32 v[42:43], v[108:109], s[66:67]
	v_mov_b32_e32 v243, v245
	v_pk_add_f32 v[242:243], v[62:63], v[242:243]
	v_pk_fma_f32 v[18:19], v[44:45], s[24:25], v[42:43]
	v_pk_add_f32 v[242:243], v[248:249], v[242:243]
	v_pk_mul_f32 v[248:249], v[92:93], s[56:57]
	v_pk_mul_f32 v[36:37], v[68:69], s[48:49]
	v_pk_fma_f32 v[252:253], v[26:27], s[20:21], v[248:249] neg_lo:[1,0,0] neg_hi:[1,0,0]
	v_pk_fma_f32 v[254:255], v[26:27], s[20:21], v[248:249]
	v_pk_fma_f32 v[16:17], v[50:51], s[0:1], v[36:37]
	v_mov_b32_e32 v253, v255
	v_pk_add_f32 v[242:243], v[252:253], v[242:243]
	v_pk_mul_f32 v[252:253], v[80:81], s[72:73]
	v_pk_mul_f32 v[34:35], v[40:41], s[60:61]
	v_pk_fma_f32 v[0:1], v[22:23], s[42:43], v[252:253] neg_lo:[1,0,0] neg_hi:[1,0,0]
	v_pk_fma_f32 v[28:29], v[22:23], s[42:43], v[252:253]
	v_pk_fma_f32 v[40:41], v[100:101], s[22:23], v[34:35]
	v_mov_b32_e32 v1, v29
	;; [unrolled: 7-line block ×3, first 2 shown]
	v_pk_add_f32 v[2:3], v[0:1], v[2:3]
	v_pk_fma_f32 v[0:1], v[38:39], s[22:23], v[46:47] neg_lo:[1,0,0] neg_hi:[1,0,0]
	v_pk_mul_f32 v[92:93], v[92:93], s[54:55]
	v_mov_b32_e32 v1, v21
	v_pk_add_f32 v[2:3], v[0:1], v[2:3]
	v_pk_fma_f32 v[0:1], v[44:45], s[24:25], v[42:43] neg_lo:[1,0,0] neg_hi:[1,0,0]
	v_pk_fma_f32 v[10:11], v[26:27], s[12:13], v[92:93]
	v_mov_b32_e32 v1, v19
	v_pk_add_f32 v[2:3], v[0:1], v[2:3]
	v_pk_fma_f32 v[0:1], v[50:51], s[0:1], v[36:37] neg_lo:[1,0,0] neg_hi:[1,0,0]
	v_pk_mul_f32 v[80:81], v[80:81], s[66:67]
	v_mov_b32_e32 v1, v17
	v_pk_add_f32 v[0:1], v[0:1], v[2:3]
	v_pk_fma_f32 v[2:3], v[100:101], s[22:23], v[34:35] neg_lo:[1,0,0] neg_hi:[1,0,0]
	ds_write2_b64 v217, v[220:221], v[0:1] offset0:42 offset1:49
	v_mov_b32_e32 v3, v41
	v_pk_fma_f32 v[220:221], v[102:103], s[18:19], v[30:31] neg_lo:[1,0,0] neg_hi:[1,0,0]
	v_pk_add_f32 v[2:3], v[62:63], v[2:3]
	v_mov_b32_e32 v221, v13
	v_pk_add_f32 v[0:1], v[220:221], v[2:3]
	v_pk_fma_f32 v[220:221], v[26:27], s[12:13], v[92:93] neg_lo:[1,0,0] neg_hi:[1,0,0]
	v_pk_fma_f32 v[8:9], v[22:23], s[24:25], v[80:81]
	v_mov_b32_e32 v221, v11
	v_pk_add_f32 v[0:1], v[220:221], v[0:1]
	v_pk_fma_f32 v[220:221], v[22:23], s[24:25], v[80:81] neg_lo:[1,0,0] neg_hi:[1,0,0]
	v_pk_mul_f32 v[78:79], v[78:79], s[52:53]
	v_mov_b32_e32 v221, v9
	v_pk_add_f32 v[0:1], v[220:221], v[0:1]
	v_pk_fma_f32 v[220:221], v[32:33], s[6:7], v[78:79] neg_lo:[1,0,0] neg_hi:[1,0,0]
	v_pk_fma_f32 v[6:7], v[32:33], s[6:7], v[78:79]
	v_pk_fma_f32 v[30:31], v[102:103], s[18:19], v[30:31] neg_lo:[0,0,1] neg_hi:[0,0,1]
	v_accvgpr_write_b32 a11, v5
	v_mov_b32_e32 v221, v7
	v_pk_mul_f32 v[66:67], v[66:67], s[62:63]
	v_mov_b32_e32 v13, v31
	v_pk_fma_f32 v[30:31], v[26:27], s[12:13], v[92:93] neg_lo:[0,0,1] neg_hi:[0,0,1]
	v_accvgpr_write_b32 a10, v4
	v_pk_add_f32 v[0:1], v[220:221], v[0:1]
	v_pk_fma_f32 v[220:221], v[38:39], s[14:15], v[66:67] neg_lo:[1,0,0] neg_hi:[1,0,0]
	v_pk_fma_f32 v[4:5], v[38:39], s[14:15], v[66:67]
	v_mov_b32_e32 v11, v31
	v_pk_fma_f32 v[30:31], v[22:23], s[24:25], v[80:81] neg_lo:[0,0,1] neg_hi:[0,0,1]
	v_mov_b32_e32 v221, v5
	v_pk_mul_f32 v[108:109], v[108:109], s[48:49]
	v_mov_b32_e32 v9, v31
	v_pk_fma_f32 v[30:31], v[32:33], s[6:7], v[78:79] neg_lo:[0,0,1] neg_hi:[0,0,1]
	v_pk_add_f32 v[0:1], v[220:221], v[0:1]
	v_pk_fma_f32 v[220:221], v[44:45], s[0:1], v[108:109] neg_lo:[1,0,0] neg_hi:[1,0,0]
	v_pk_fma_f32 v[2:3], v[44:45], s[0:1], v[108:109]
	v_mov_b32_e32 v7, v31
	v_pk_fma_f32 v[30:31], v[38:39], s[14:15], v[66:67] neg_lo:[0,0,1] neg_hi:[0,0,1]
	v_mov_b32_e32 v221, v3
	v_pk_mul_f32 v[68:69], v[68:69], s[70:71]
	v_pk_fma_f32 v[34:35], v[100:101], s[22:23], v[34:35] neg_lo:[0,0,1] neg_hi:[0,0,1]
	v_mov_b32_e32 v5, v31
	v_pk_fma_f32 v[30:31], v[44:45], s[0:1], v[108:109] neg_lo:[0,0,1] neg_hi:[0,0,1]
	v_pk_add_f32 v[14:15], v[220:221], v[0:1]
	v_pk_fma_f32 v[220:221], v[50:51], s[36:37], v[68:69] neg_lo:[1,0,0] neg_hi:[1,0,0]
	v_pk_fma_f32 v[0:1], v[50:51], s[36:37], v[68:69]
	v_mov_b32_e32 v41, v35
	v_mov_b32_e32 v3, v31
	v_pk_fma_f32 v[30:31], v[50:51], s[36:37], v[68:69] neg_lo:[0,0,1] neg_hi:[0,0,1]
	v_mov_b32_e32 v221, v1
	v_mov_b32_e32 v1, v31
	v_pk_add_f32 v[30:31], v[62:63], v[40:41]
	v_pk_add_f32 v[14:15], v[220:221], v[14:15]
	;; [unrolled: 1-line block ×3, first 2 shown]
	s_mov_b32 s31, s29
	v_pk_add_f32 v[10:11], v[10:11], v[12:13]
	s_mul_i32 s34, s34, s33
	v_pk_add_f32 v[8:9], v[8:9], v[10:11]
	s_mov_b32 s48, s23
	v_pk_add_f32 v[6:7], v[6:7], v[8:9]
	s_nop 0
	v_pk_add_f32 v[4:5], v[4:5], v[6:7]
	s_nop 0
	;; [unrolled: 2-line block ×3, first 2 shown]
	v_pk_add_f32 v[0:1], v[0:1], v[2:3]
	ds_write2_b64 v217, v[14:15], v[0:1] offset0:56 offset1:63
	v_pk_fma_f32 v[0:1], v[100:101], s[12:13], v[238:239] neg_lo:[0,0,1] neg_hi:[0,0,1]
	v_pk_fma_f32 v[2:3], v[100:101], s[6:7], v[204:205] neg_lo:[0,0,1] neg_hi:[0,0,1]
	v_mov_b32_e32 v245, v1
	v_pk_fma_f32 v[0:1], v[102:103], s[14:15], v[246:247] neg_lo:[0,0,1] neg_hi:[0,0,1]
	v_mov_b32_e32 v201, v3
	;; [unrolled: 2-line block ×15, first 2 shown]
	v_pk_add_f32 v[0:1], v[62:63], v[244:245]
	v_mov_b32_e32 v241, v3
	v_pk_add_f32 v[2:3], v[62:63], v[200:201]
	v_pk_add_f32 v[0:1], v[250:251], v[0:1]
	;; [unrolled: 1-line block ×15, first 2 shown]
	ds_write2_b64 v217, v[0:1], v[2:3] offset0:70 offset1:77
	v_pk_fma_f32 v[0:1], v[100:101], s[0:1], v[172:173] neg_lo:[0,0,1] neg_hi:[0,0,1]
	v_pk_fma_f32 v[2:3], v[100:101], s[20:21], v[140:141] neg_lo:[0,0,1] neg_hi:[0,0,1]
	v_mov_b32_e32 v169, v1
	v_pk_fma_f32 v[0:1], v[102:103], s[44:45], v[174:175] neg_lo:[0,0,1] neg_hi:[0,0,1]
	v_mov_b32_e32 v137, v3
	;; [unrolled: 2-line block ×15, first 2 shown]
	v_pk_add_f32 v[0:1], v[62:63], v[168:169]
	v_mov_b32_e32 v163, v3
	v_pk_add_f32 v[2:3], v[62:63], v[136:137]
	v_pk_add_f32 v[0:1], v[170:171], v[0:1]
	;; [unrolled: 1-line block ×15, first 2 shown]
	ds_write2_b64 v217, v[0:1], v[2:3] offset0:84 offset1:91
	v_accvgpr_read_b32 v2, a18
	v_accvgpr_read_b32 v3, a19
	v_pk_fma_f32 v[2:3], v[100:101], s[26:27], v[2:3] neg_lo:[0,0,1] neg_hi:[0,0,1]
	v_pk_fma_f32 v[0:1], v[100:101], s[38:39], v[98:99] neg_lo:[0,0,1] neg_hi:[0,0,1]
	v_mov_b32_e32 v213, v3
	v_accvgpr_read_b32 v2, a20
	v_accvgpr_read_b32 v3, a21
	v_pk_fma_f32 v[2:3], v[102:103], s[20:21], v[2:3] neg_lo:[0,0,1] neg_hi:[0,0,1]
	v_mov_b32_e32 v105, v1
	v_mov_b32_e32 v59, v3
	v_accvgpr_read_b32 v2, a22
	v_accvgpr_read_b32 v3, a23
	v_pk_fma_f32 v[2:3], v[26:27], s[6:7], v[2:3] neg_lo:[0,0,1] neg_hi:[0,0,1]
	v_pk_fma_f32 v[0:1], v[102:103], s[6:7], v[60:61] neg_lo:[0,0,1] neg_hi:[0,0,1]
	v_mov_b32_e32 v71, v3
	v_accvgpr_read_b32 v2, a24
	v_accvgpr_read_b32 v3, a25
	v_pk_fma_f32 v[2:3], v[22:23], s[22:23], v[2:3] neg_lo:[0,0,1] neg_hi:[0,0,1]
	v_mov_b32_e32 v107, v1
	v_mov_b32_e32 v73, v3
	;; [unrolled: 10-line block ×3, first 2 shown]
	v_accvgpr_read_b32 v2, a30
	v_pk_fma_f32 v[0:1], v[22:23], s[40:41], v[122:123] neg_lo:[0,0,1] neg_hi:[0,0,1]
	v_accvgpr_read_b32 v3, a31
	v_mov_b32_e32 v115, v1
	v_pk_fma_f32 v[0:1], v[32:33], s[24:25], v[128:129] neg_lo:[0,0,1] neg_hi:[0,0,1]
	v_pk_fma_f32 v[2:3], v[44:45], s[14:15], v[2:3] neg_lo:[0,0,1] neg_hi:[0,0,1]
	v_mov_b32_e32 v117, v1
	v_pk_fma_f32 v[0:1], v[38:39], s[16:17], v[130:131] neg_lo:[0,0,1] neg_hi:[0,0,1]
	v_mov_b32_e32 v89, v3
	v_accvgpr_read_b32 v2, a32
	v_mov_b32_e32 v119, v1
	v_pk_fma_f32 v[0:1], v[44:45], s[20:21], v[132:133] neg_lo:[0,0,1] neg_hi:[0,0,1]
	v_accvgpr_read_b32 v3, a33
	v_mov_b32_e32 v125, v1
	v_pk_fma_f32 v[0:1], v[50:51], s[12:13], v[134:135] neg_lo:[0,0,1] neg_hi:[0,0,1]
	v_pk_fma_f32 v[2:3], v[50:51], s[18:19], v[2:3] neg_lo:[0,0,1] neg_hi:[0,0,1]
	v_mov_b32_e32 v127, v1
	v_pk_add_f32 v[0:1], v[62:63], v[104:105]
	v_mov_b32_e32 v95, v3
	v_pk_add_f32 v[2:3], v[62:63], v[212:213]
	v_pk_add_f32 v[0:1], v[106:107], v[0:1]
	;; [unrolled: 1-line block ×15, first 2 shown]
	ds_write2_b64 v217, v[0:1], v[2:3] offset0:98 offset1:105
	v_accvgpr_read_b32 v2, a4
	v_accvgpr_read_b32 v3, a5
	v_pk_fma_f32 v[2:3], v[102:103], s[26:27], v[2:3] neg_lo:[0,0,1] neg_hi:[0,0,1]
	v_accvgpr_read_b32 v0, a2
	v_mov_b32_e32 v91, v3
	v_accvgpr_read_b32 v2, a6
	v_accvgpr_read_b32 v3, a7
	v_pk_fma_f32 v[2:3], v[26:27], s[38:39], v[2:3] neg_lo:[0,0,1] neg_hi:[0,0,1]
	v_accvgpr_read_b32 v1, a3
	v_mov_b32_e32 v87, v3
	v_accvgpr_read_b32 v2, a8
	v_accvgpr_read_b32 v3, a9
	v_pk_fma_f32 v[2:3], v[22:23], s[20:21], v[2:3] neg_lo:[0,0,1] neg_hi:[0,0,1]
	v_pk_fma_f32 v[0:1], v[100:101], s[16:17], v[0:1] neg_lo:[0,0,1] neg_hi:[0,0,1]
	v_mov_b32_e32 v83, v3
	v_accvgpr_read_b32 v2, a10
	v_accvgpr_read_b32 v3, a11
	v_pk_fma_f32 v[2:3], v[32:33], s[0:1], v[2:3] neg_lo:[0,0,1] neg_hi:[0,0,1]
	v_mov_b32_e32 v97, v1
	v_mov_b32_e32 v77, v3
	v_accvgpr_read_b32 v2, a12
	v_accvgpr_read_b32 v3, a13
	v_pk_fma_f32 v[2:3], v[38:39], s[6:7], v[2:3] neg_lo:[0,0,1] neg_hi:[0,0,1]
	v_pk_add_f32 v[0:1], v[62:63], v[96:97]
	v_mov_b32_e32 v65, v3
	v_accvgpr_read_b32 v2, a14
	v_pk_add_f32 v[0:1], v[90:91], v[0:1]
	v_accvgpr_read_b32 v3, a15
	v_pk_add_f32 v[0:1], v[86:87], v[0:1]
	v_pk_fma_f32 v[2:3], v[44:45], s[12:13], v[2:3] neg_lo:[0,0,1] neg_hi:[0,0,1]
	v_pk_add_f32 v[0:1], v[82:83], v[0:1]
	v_mov_b32_e32 v49, v3
	v_accvgpr_read_b32 v2, a16
	v_pk_add_f32 v[0:1], v[76:77], v[0:1]
	v_accvgpr_read_b32 v3, a17
	v_pk_add_f32 v[0:1], v[64:65], v[0:1]
	v_pk_fma_f32 v[2:3], v[50:51], s[22:23], v[2:3] neg_lo:[0,0,1] neg_hi:[0,0,1]
	v_pk_add_f32 v[0:1], v[48:49], v[0:1]
	v_mov_b32_e32 v53, v3
	v_pk_add_f32 v[0:1], v[52:53], v[0:1]
	ds_write_b64 v217, v[0:1] offset:896
	v_mul_lo_u16_e32 v0, 31, v216
	v_lshrrev_b16_e32 v0, 9, v0
	v_mul_lo_u16_e32 v0, 17, v0
	v_sub_u16_e32 v64, v216, v0
	v_mov_b32_e32 v0, 7
	v_lshlrev_b32_sdwa v60, v0, v64 dst_sel:DWORD dst_unused:UNUSED_PAD src0_sel:DWORD src1_sel:BYTE_0
	s_waitcnt lgkmcnt(0)
	s_barrier
	global_load_dwordx4 v[22:25], v60, s[4:5]
	global_load_dwordx4 v[18:21], v60, s[4:5] offset:16
	global_load_dwordx4 v[14:17], v60, s[4:5] offset:32
	;; [unrolled: 1-line block ×6, first 2 shown]
	ds_read2_b64 v[2:5], v214 offset1:119
	ds_read_b64 v[26:27], v214 offset:1904
	ds_read_b64 v[50:51], v214 offset:15232
	v_add_u32_e32 v0, 0x800, v214
	ds_read2_b32 v[0:1], v0 offset0:202 offset1:203
	s_waitcnt vmcnt(6) lgkmcnt(3)
	v_mul_f32_e32 v28, v23, v5
	v_fma_f32 v28, v22, v4, -v28
	v_mul_f32_e32 v29, v23, v4
	s_waitcnt lgkmcnt(2)
	v_mul_f32_e32 v4, v25, v27
	v_mul_f32_e32 v53, v25, v26
	v_fmac_f32_e32 v29, v22, v5
	v_fma_f32 v52, v24, v26, -v4
	v_fmac_f32_e32 v53, v24, v27
	ds_read2_b64 v[22:25], v215 offset0:92 offset1:211
	v_accvgpr_read_b32 v4, a1
	ds_read2_b64 v[38:41], v4 offset0:74 offset1:193
	ds_read2_b64 v[42:45], v111 offset0:56 offset1:175
	;; [unrolled: 1-line block ×3, first 2 shown]
	s_waitcnt lgkmcnt(4)
	v_mov_b32_e32 v4, v1
	s_waitcnt vmcnt(5)
	v_pk_mul_f32 v[4:5], v[4:5], v[18:19] op_sel:[0,1] op_sel_hi:[0,0]
	v_pk_fma_f32 v[26:27], v[18:19], v[0:1], v[4:5] op_sel_hi:[1,0,1] neg_lo:[0,0,1] neg_hi:[0,0,1]
	v_pk_fma_f32 v[0:1], v[18:19], v[0:1], v[4:5] op_sel_hi:[1,0,1]
	v_mov_b32_e32 v111, v153
	v_mov_b32_e32 v0, v21
	s_waitcnt lgkmcnt(3)
	v_pk_mul_f32 v[4:5], v[22:23], v[0:1] op_sel_hi:[1,0]
	s_waitcnt vmcnt(4)
	v_mov_b32_e32 v0, v17
	v_pk_fma_f32 v[18:19], v[22:23], v[20:21], v[4:5] op_sel:[0,0,1] op_sel_hi:[1,0,0] neg_lo:[0,0,1] neg_hi:[0,0,1]
	v_pk_fma_f32 v[20:21], v[22:23], v[20:21], v[4:5] op_sel:[0,0,1] op_sel_hi:[1,0,0]
	v_pk_mul_f32 v[4:5], v[24:25], v[14:15] op_sel:[0,1]
	v_mov_b32_e32 v27, v1
	v_pk_fma_f32 v[22:23], v[24:25], v[14:15], v[4:5] op_sel:[0,0,1] op_sel_hi:[1,0,0] neg_lo:[0,0,1] neg_hi:[0,0,1]
	v_pk_fma_f32 v[24:25], v[24:25], v[14:15], v[4:5] op_sel:[0,0,1] op_sel_hi:[1,0,0]
	s_waitcnt lgkmcnt(2)
	v_pk_mul_f32 v[4:5], v[38:39], v[0:1] op_sel_hi:[1,0]
	s_waitcnt vmcnt(3)
	v_mov_b32_e32 v0, v9
	v_pk_fma_f32 v[54:55], v[38:39], v[16:17], v[4:5] op_sel:[0,0,1] op_sel_hi:[1,1,0] neg_lo:[0,0,1] neg_hi:[0,0,1]
	v_pk_fma_f32 v[38:39], v[38:39], v[16:17], v[4:5] op_sel:[0,0,1] op_sel_hi:[1,0,0]
	global_load_dwordx4 v[14:17], v60, s[4:5] offset:112
	v_pk_mul_f32 v[4:5], v[40:41], v[6:7] op_sel:[0,1]
	v_mov_b32_e32 v55, v39
	v_pk_fma_f32 v[58:59], v[40:41], v[6:7], v[4:5] op_sel:[0,0,1] op_sel_hi:[1,1,0] neg_lo:[0,0,1] neg_hi:[0,0,1]
	v_pk_fma_f32 v[40:41], v[40:41], v[6:7], v[4:5] op_sel:[0,0,1] op_sel_hi:[1,0,0]
	s_waitcnt lgkmcnt(1)
	v_pk_mul_f32 v[4:5], v[42:43], v[0:1] op_sel_hi:[1,0]
	s_waitcnt vmcnt(3)
	v_mov_b32_e32 v0, v13
	v_pk_fma_f32 v[60:61], v[42:43], v[8:9], v[4:5] op_sel:[0,0,1] op_sel_hi:[1,1,0] neg_lo:[0,0,1] neg_hi:[0,0,1]
	v_pk_fma_f32 v[8:9], v[42:43], v[8:9], v[4:5] op_sel:[0,0,1] op_sel_hi:[1,0,0]
	v_pk_mul_f32 v[4:5], v[44:45], v[10:11] op_sel:[0,1]
	v_mov_b32_e32 v61, v9
	v_pk_fma_f32 v[42:43], v[44:45], v[10:11], v[4:5] op_sel:[0,0,1] op_sel_hi:[1,1,0] neg_lo:[0,0,1] neg_hi:[0,0,1]
	v_pk_fma_f32 v[10:11], v[44:45], v[10:11], v[4:5] op_sel:[0,0,1] op_sel_hi:[1,0,0]
	s_waitcnt lgkmcnt(0)
	v_pk_mul_f32 v[4:5], v[46:47], v[0:1] op_sel_hi:[1,0]
	v_accvgpr_read_b32 v0, a0
	v_pk_fma_f32 v[44:45], v[46:47], v[12:13], v[4:5] op_sel:[0,0,1] op_sel_hi:[1,1,0] neg_lo:[0,0,1] neg_hi:[0,0,1]
	v_pk_fma_f32 v[12:13], v[46:47], v[12:13], v[4:5] op_sel:[0,0,1] op_sel_hi:[1,0,0]
	ds_read2_b64 v[4:7], v0 offset0:20 offset1:139
	s_waitcnt vmcnt(2)
	v_pk_mul_f32 v[46:47], v[48:49], v[30:31] op_sel:[0,1]
	v_mov_b32_e32 v0, v33
	v_pk_fma_f32 v[62:63], v[48:49], v[30:31], v[46:47] op_sel:[0,0,1] op_sel_hi:[1,1,0] neg_lo:[0,0,1] neg_hi:[0,0,1]
	v_pk_fma_f32 v[30:31], v[48:49], v[30:31], v[46:47] op_sel:[0,0,1] op_sel_hi:[1,0,0]
	s_waitcnt lgkmcnt(0)
	v_pk_mul_f32 v[46:47], v[4:5], v[0:1] op_sel_hi:[1,0]
	v_mov_b32_e32 v63, v31
	v_pk_fma_f32 v[48:49], v[4:5], v[32:33], v[46:47] op_sel:[0,0,1] op_sel_hi:[1,1,0] neg_lo:[0,0,1] neg_hi:[0,0,1]
	v_pk_fma_f32 v[4:5], v[4:5], v[32:33], v[46:47] op_sel:[0,0,1] op_sel_hi:[1,0,0]
	s_waitcnt vmcnt(1)
	v_pk_mul_f32 v[32:33], v[6:7], v[34:35] op_sel:[0,1]
	v_mov_b32_e32 v49, v5
	v_pk_fma_f32 v[46:47], v[6:7], v[34:35], v[32:33] op_sel:[0,0,1] op_sel_hi:[1,1,0] neg_lo:[0,0,1] neg_hi:[0,0,1]
	v_pk_fma_f32 v[34:35], v[6:7], v[34:35], v[32:33] op_sel:[0,0,1] op_sel_hi:[1,0,0]
	v_lshl_add_u64 v[6:7], s[30:31], 0, v[110:111]
	v_mul_lo_u32 v0, v7, s8
	v_mul_lo_u32 v4, v6, s9
	v_mad_u64_u32 v[32:33], s[4:5], v6, s8, 0
	ds_read2_b64 v[6:9], v57 offset0:130 offset1:249
	v_add3_u32 v33, v33, v4, v0
	v_mul_u32_u24_e32 v0, 0x227, v56
	v_mul_lo_u16_sdwa v0, v0, s28 dst_sel:DWORD dst_unused:UNUSED_PAD src0_sel:WORD_1 src1_sel:DWORD
	v_add_u32_sdwa v0, v64, v0 dst_sel:DWORD dst_unused:UNUSED_PAD src0_sel:BYTE_0 src1_sel:DWORD
	v_mul_lo_u32 v152, v0, s11
	v_mov_b32_e32 v0, v37
	s_waitcnt lgkmcnt(0)
	v_pk_mul_f32 v[4:5], v[6:7], v[0:1] op_sel_hi:[1,0]
	s_lshl_b64 s[4:5], s[34:35], 3
	v_pk_fma_f32 v[30:31], v[6:7], v[36:37], v[4:5] op_sel:[0,0,1] op_sel_hi:[1,1,0] neg_lo:[0,0,1] neg_hi:[0,0,1]
	v_pk_fma_f32 v[4:5], v[6:7], v[36:37], v[4:5] op_sel:[0,0,1] op_sel_hi:[1,0,0]
	s_mul_i32 s28, s74, s10
	s_add_u32 s4, s2, s4
	v_add_f32_e32 v0, v28, v2
	v_add_f32_e32 v4, v29, v3
	s_addc_u32 s5, s3, s5
	s_lshl_b64 s[2:3], s[28:29], 3
	v_add_f32_e32 v0, v0, v52
	v_add_f32_e32 v4, v4, v53
	s_add_u32 s2, s4, s2
	v_mov_b32_e32 v31, v5
	v_add_f32_e32 v0, v0, v26
	v_add_f32_e32 v1, v4, v1
	s_addc_u32 s3, s5, s3
	v_add_f32_e32 v0, v0, v18
	v_add_f32_e32 v1, v1, v21
	v_pk_add_f32 v[6:7], v[26:27], v[30:31] neg_lo:[0,1] neg_hi:[0,1]
	v_mov_b32_e32 v45, v13
	v_lshl_add_u64 v[32:33], v[32:33], 3, s[2:3]
	v_add_f32_e32 v12, v0, v22
	v_add_f32_e32 v13, v1, v25
	v_pk_add_f32 v[4:5], v[26:27], v[30:31]
	s_mov_b32 s2, s39
	v_pk_mul_f32 v[0:1], v[6:7], s[38:39] op_sel:[1,0] op_sel_hi:[0,0]
	v_mov_b32_e32 v47, v35
	v_pk_fma_f32 v[34:35], v[4:5], s[2:3], v[0:1] op_sel_hi:[1,0,1]
	v_pk_fma_f32 v[26:27], v[4:5], s[2:3], v[0:1] op_sel_hi:[1,0,1] neg_lo:[0,0,1] neg_hi:[0,0,1]
	v_mov_b32_e32 v59, v41
	v_mov_b32_e32 v43, v11
	;; [unrolled: 1-line block ×3, first 2 shown]
	v_pk_add_f32 v[10:11], v[22:23], v[48:49]
	v_mov_b32_e32 v19, v21
	v_pk_add_f32 v[20:21], v[18:19], v[46:47] neg_lo:[0,1] neg_hi:[0,1]
	s_mov_b32 s10, s17
	v_lshl_add_u64 v[38:39], v[152:153], 3, v[32:33]
	s_waitcnt vmcnt(0)
	v_pk_mul_f32 v[0:1], v[8:9], v[14:15] op_sel:[0,1]
	s_mov_b32 s8, s27
	v_pk_fma_f32 v[40:41], v[8:9], v[14:15], v[0:1] op_sel:[0,0,1] op_sel_hi:[1,1,0] neg_lo:[0,0,1] neg_hi:[0,0,1]
	v_pk_fma_f32 v[0:1], v[8:9], v[14:15], v[0:1] op_sel:[0,0,1] op_sel_hi:[1,0,0]
	v_pk_add_f32 v[14:15], v[18:19], v[46:47]
	v_mov_b32_e32 v0, v17
	v_pk_mul_f32 v[8:9], v[50:51], v[0:1] op_sel_hi:[1,0]
	v_mov_b32_e32 v41, v1
	v_pk_fma_f32 v[64:65], v[50:51], v[16:17], v[8:9] op_sel:[0,0,1] op_sel_hi:[1,1,0] neg_lo:[0,0,1] neg_hi:[0,0,1]
	v_pk_fma_f32 v[8:9], v[50:51], v[16:17], v[8:9] op_sel:[0,0,1] op_sel_hi:[1,0,0]
	v_pk_add_f32 v[16:17], v[22:23], v[48:49] neg_lo:[0,1] neg_hi:[0,1]
	v_mov_b32_e32 v65, v9
	v_pk_add_f32 v[8:9], v[12:13], v[54:55]
	v_pk_add_f32 v[0:1], v[60:61], v[42:43]
	;; [unrolled: 1-line block ×3, first 2 shown]
	v_pk_add_f32 v[18:19], v[58:59], v[44:45] neg_lo:[0,1] neg_hi:[0,1]
	v_pk_add_f32 v[12:13], v[8:9], v[60:61]
	v_pk_add_f32 v[8:9], v[60:61], v[42:43] neg_lo:[0,1] neg_hi:[0,1]
	v_pk_add_f32 v[22:23], v[12:13], v[42:43]
	v_pk_add_f32 v[12:13], v[58:59], v[44:45]
	v_pk_add_f32 v[42:43], v[22:23], v[44:45]
	v_pk_add_f32 v[58:59], v[28:29], v[64:65] neg_lo:[0,1] neg_hi:[0,1]
	v_pk_add_f32 v[42:43], v[42:43], v[62:63]
	v_pk_add_f32 v[56:57], v[28:29], v[64:65]
	v_pk_add_f32 v[42:43], v[42:43], v[48:49]
	v_pk_mul_f32 v[28:29], v[58:59], s[16:17] op_sel:[1,0] op_sel_hi:[0,0]
	v_pk_add_f32 v[42:43], v[42:43], v[46:47]
	v_pk_fma_f32 v[60:61], v[56:57], s[10:11], v[28:29] op_sel_hi:[1,0,1]
	v_pk_add_f32 v[30:31], v[42:43], v[30:31]
	v_pk_fma_f32 v[46:47], v[56:57], s[10:11], v[28:29] op_sel_hi:[1,0,1] neg_lo:[0,0,1] neg_hi:[0,0,1]
	v_pk_add_f32 v[30:31], v[30:31], v[40:41]
	v_pk_add_f32 v[28:29], v[52:53], v[40:41]
	;; [unrolled: 1-line block ×3, first 2 shown]
	v_pk_add_f32 v[30:31], v[52:53], v[40:41] neg_lo:[0,1] neg_hi:[0,1]
	v_mov_b32_e32 v45, v47
	v_pk_mul_f32 v[40:41], v[30:31], s[26:27] op_sel:[1,0] op_sel_hi:[0,0]
	global_store_dwordx2 v[38:39], v[42:43], off
	v_pk_fma_f32 v[38:39], v[28:29], s[8:9], v[40:41] op_sel_hi:[1,0,1]
	v_pk_fma_f32 v[42:43], v[28:29], s[8:9], v[40:41] op_sel_hi:[1,0,1] neg_lo:[0,0,1] neg_hi:[0,0,1]
	v_mov_b32_e32 v47, v61
	s_mov_b32 s4, s21
	v_pk_mul_f32 v[50:51], v[20:21], s[20:21] op_sel:[1,0] op_sel_hi:[0,0]
	v_mov_b32_e32 v41, v43
	v_pk_add_f32 v[46:47], v[46:47], v[2:3]
	v_mov_b32_e32 v43, v39
	v_mov_b32_e32 v37, v27
	v_pk_add_f32 v[46:47], v[42:43], v[46:47]
	v_pk_fma_f32 v[42:43], v[14:15], s[4:5], v[50:51] op_sel_hi:[1,0,1]
	v_pk_fma_f32 v[48:49], v[14:15], s[4:5], v[50:51] op_sel_hi:[1,0,1] neg_lo:[0,0,1] neg_hi:[0,0,1]
	v_mov_b32_e32 v27, v35
	v_pk_add_f32 v[26:27], v[26:27], v[46:47]
	v_mov_b32_e32 v35, v49
	v_mov_b32_e32 v49, v43
	s_mov_b32 s28, s1
	v_pk_add_f32 v[26:27], v[48:49], v[26:27]
	v_pk_mul_f32 v[48:49], v[16:17], s[0:1] op_sel:[1,0] op_sel_hi:[0,0]
	v_pk_add_f32 v[24:25], v[54:55], v[62:63] neg_lo:[0,1] neg_hi:[0,1]
	v_pk_fma_f32 v[46:47], v[10:11], s[28:29], v[48:49] op_sel_hi:[1,0,1]
	v_pk_fma_f32 v[48:49], v[10:11], s[28:29], v[48:49] op_sel_hi:[1,0,1] neg_lo:[0,0,1] neg_hi:[0,0,1]
	v_pk_add_f32 v[22:23], v[54:55], v[62:63]
	v_mov_b32_e32 v43, v49
	v_mov_b32_e32 v49, v47
	s_mov_b32 s30, s7
	v_pk_mul_f32 v[50:51], v[24:25], s[6:7] op_sel:[1,0] op_sel_hi:[0,0]
	v_pk_add_f32 v[26:27], v[48:49], v[26:27]
	v_pk_fma_f32 v[48:49], v[22:23], s[30:31], v[50:51] op_sel_hi:[1,0,1]
	v_pk_fma_f32 v[50:51], v[22:23], s[30:31], v[50:51] op_sel_hi:[1,0,1] neg_lo:[0,0,1] neg_hi:[0,0,1]
	s_mov_b32 s34, s13
	v_mov_b32_e32 v47, v51
	v_mov_b32_e32 v51, v49
	v_pk_mul_f32 v[52:53], v[18:19], s[12:13] op_sel:[1,0] op_sel_hi:[0,0]
	v_pk_add_f32 v[26:27], v[50:51], v[26:27]
	v_pk_fma_f32 v[50:51], v[12:13], s[34:35], v[52:53] op_sel_hi:[1,0,1]
	v_pk_fma_f32 v[52:53], v[12:13], s[34:35], v[52:53] op_sel_hi:[1,0,1] neg_lo:[0,0,1] neg_hi:[0,0,1]
	v_pk_mul_f32 v[54:55], v[8:9], s[22:23] op_sel:[1,0] op_sel_hi:[0,0]
	v_mov_b32_e32 v49, v53
	v_mov_b32_e32 v53, v51
	v_pk_add_f32 v[26:27], v[52:53], v[26:27]
	v_pk_fma_f32 v[52:53], v[0:1], s[48:49], v[54:55] op_sel_hi:[1,0,1]
	v_pk_fma_f32 v[54:55], v[0:1], s[48:49], v[54:55] op_sel_hi:[1,0,1] neg_lo:[0,0,1] neg_hi:[0,0,1]
	s_mul_i32 s11, s11, 17
	v_mov_b32_e32 v51, v55
	v_mov_b32_e32 v55, v53
	v_add_u32_e32 v152, s11, v152
	v_pk_add_f32 v[26:27], v[54:55], v[26:27]
	v_lshl_add_u64 v[54:55], v[152:153], 3, v[32:33]
	global_store_dwordx2 v[54:55], v[26:27], off
	v_pk_mul_f32 v[26:27], v[58:59], s[26:27] op_sel:[1,0] op_sel_hi:[0,0]
	v_pk_fma_f32 v[74:75], v[56:57], s[8:9], v[26:27] op_sel_hi:[1,0,1]
	v_pk_fma_f32 v[26:27], v[56:57], s[8:9], v[26:27] op_sel_hi:[1,0,1] neg_lo:[0,0,1] neg_hi:[0,0,1]
	v_pk_mul_f32 v[62:63], v[30:31], s[20:21] op_sel:[1,0] op_sel_hi:[0,0]
	v_pk_fma_f32 v[54:55], v[28:29], s[4:5], v[62:63] op_sel_hi:[1,0,1]
	v_pk_fma_f32 v[62:63], v[28:29], s[4:5], v[62:63] op_sel_hi:[1,0,1] neg_lo:[0,0,1] neg_hi:[0,0,1]
	v_mov_b32_e32 v61, v27
	v_mov_b32_e32 v27, v75
	v_pk_add_f32 v[26:27], v[26:27], v[2:3]
	v_mov_b32_e32 v39, v63
	v_mov_b32_e32 v63, v55
	v_pk_mul_f32 v[64:65], v[6:7], s[6:7] op_sel:[1,0] op_sel_hi:[0,0]
	v_pk_add_f32 v[26:27], v[62:63], v[26:27]
	v_pk_fma_f32 v[62:63], v[4:5], s[30:31], v[64:65] op_sel_hi:[1,0,1]
	v_pk_fma_f32 v[64:65], v[4:5], s[30:31], v[64:65] op_sel_hi:[1,0,1] neg_lo:[0,0,1] neg_hi:[0,0,1]
	v_pk_mul_f32 v[66:67], v[20:21], s[22:23] op_sel:[1,0] op_sel_hi:[0,0]
	v_mov_b32_e32 v53, v65
	v_mov_b32_e32 v65, v63
	v_pk_add_f32 v[26:27], v[64:65], v[26:27]
	v_pk_fma_f32 v[64:65], v[14:15], s[48:49], v[66:67] op_sel_hi:[1,0,1]
	v_pk_fma_f32 v[66:67], v[14:15], s[48:49], v[66:67] op_sel_hi:[1,0,1] neg_lo:[0,0,1] neg_hi:[0,0,1]
	v_pk_mul_f32 v[68:69], v[16:17], s[44:45] op_sel:[1,0] op_sel_hi:[0,0]
	v_mov_b32_e32 v55, v67
	v_mov_b32_e32 v67, v65
	v_pk_add_f32 v[26:27], v[66:67], v[26:27]
	v_pk_fma_f32 v[66:67], v[10:11], s[34:35], v[68:69] op_sel_hi:[1,0,1]
	v_pk_fma_f32 v[68:69], v[10:11], s[34:35], v[68:69] op_sel_hi:[1,0,1] neg_lo:[0,0,1] neg_hi:[0,0,1]
	v_pk_mul_f32 v[70:71], v[24:25], s[40:41] op_sel:[1,0] op_sel_hi:[0,0]
	v_mov_b32_e32 v63, v69
	v_mov_b32_e32 v69, v67
	v_pk_add_f32 v[26:27], v[68:69], v[26:27]
	v_pk_fma_f32 v[68:69], v[22:23], s[28:29], v[70:71] op_sel_hi:[1,0,1]
	v_pk_fma_f32 v[70:71], v[22:23], s[28:29], v[70:71] op_sel_hi:[1,0,1] neg_lo:[0,0,1] neg_hi:[0,0,1]
	v_pk_mul_f32 v[72:73], v[18:19], s[14:15] op_sel:[1,0] op_sel_hi:[0,0]
	v_mov_b32_e32 v65, v71
	v_mov_b32_e32 v71, v69
	v_pk_add_f32 v[26:27], v[70:71], v[26:27]
	v_pk_fma_f32 v[70:71], v[12:13], s[2:3], v[72:73] op_sel_hi:[1,0,1]
	v_pk_fma_f32 v[72:73], v[12:13], s[2:3], v[72:73] op_sel_hi:[1,0,1] neg_lo:[0,0,1] neg_hi:[0,0,1]
	v_pk_mul_f32 v[76:77], v[8:9], s[18:19] op_sel:[1,0] op_sel_hi:[0,0]
	v_mov_b32_e32 v67, v73
	v_mov_b32_e32 v73, v71
	v_pk_add_f32 v[26:27], v[72:73], v[26:27]
	v_pk_fma_f32 v[72:73], v[0:1], s[10:11], v[76:77] op_sel_hi:[1,0,1]
	v_pk_fma_f32 v[76:77], v[0:1], s[10:11], v[76:77] op_sel_hi:[1,0,1] neg_lo:[0,0,1] neg_hi:[0,0,1]
	v_add_u32_e32 v152, s11, v152
	v_mov_b32_e32 v69, v77
	v_mov_b32_e32 v77, v73
	v_pk_add_f32 v[26:27], v[76:77], v[26:27]
	v_lshl_add_u64 v[76:77], v[152:153], 3, v[32:33]
	global_store_dwordx2 v[76:77], v[26:27], off
	v_pk_mul_f32 v[26:27], v[58:59], s[38:39] op_sel:[1,0] op_sel_hi:[0,0]
	v_pk_fma_f32 v[92:93], v[56:57], s[2:3], v[26:27] op_sel_hi:[1,0,1]
	v_pk_fma_f32 v[26:27], v[56:57], s[2:3], v[26:27] op_sel_hi:[1,0,1] neg_lo:[0,0,1] neg_hi:[0,0,1]
	v_pk_mul_f32 v[78:79], v[30:31], s[6:7] op_sel:[1,0] op_sel_hi:[0,0]
	v_pk_fma_f32 v[76:77], v[28:29], s[30:31], v[78:79] op_sel_hi:[1,0,1]
	v_pk_fma_f32 v[78:79], v[28:29], s[30:31], v[78:79] op_sel_hi:[1,0,1] neg_lo:[0,0,1] neg_hi:[0,0,1]
	v_mov_b32_e32 v75, v27
	v_mov_b32_e32 v27, v93
	v_pk_add_f32 v[26:27], v[26:27], v[2:3]
	v_mov_b32_e32 v71, v79
	v_mov_b32_e32 v79, v77
	v_pk_mul_f32 v[80:81], v[6:7], s[46:47] op_sel:[1,0] op_sel_hi:[0,0]
	v_pk_add_f32 v[26:27], v[78:79], v[26:27]
	v_pk_fma_f32 v[78:79], v[4:5], s[48:49], v[80:81] op_sel_hi:[1,0,1]
	v_pk_fma_f32 v[80:81], v[4:5], s[48:49], v[80:81] op_sel_hi:[1,0,1] neg_lo:[0,0,1] neg_hi:[0,0,1]
	v_pk_mul_f32 v[82:83], v[20:21], s[40:41] op_sel:[1,0] op_sel_hi:[0,0]
	v_mov_b32_e32 v73, v81
	v_mov_b32_e32 v81, v79
	v_pk_add_f32 v[26:27], v[80:81], v[26:27]
	v_pk_fma_f32 v[80:81], v[14:15], s[28:29], v[82:83] op_sel_hi:[1,0,1]
	v_pk_fma_f32 v[82:83], v[14:15], s[28:29], v[82:83] op_sel_hi:[1,0,1] neg_lo:[0,0,1] neg_hi:[0,0,1]
	v_pk_mul_f32 v[84:85], v[16:17], s[24:25] op_sel:[1,0] op_sel_hi:[0,0]
	v_mov_b32_e32 v77, v83
	v_mov_b32_e32 v83, v81
	v_pk_add_f32 v[26:27], v[82:83], v[26:27]
	v_pk_fma_f32 v[82:83], v[10:11], s[8:9], v[84:85] op_sel_hi:[1,0,1]
	v_pk_fma_f32 v[84:85], v[10:11], s[8:9], v[84:85] op_sel_hi:[1,0,1] neg_lo:[0,0,1] neg_hi:[0,0,1]
	v_pk_mul_f32 v[86:87], v[24:25], s[16:17] op_sel:[1,0] op_sel_hi:[0,0]
	v_mov_b32_e32 v79, v85
	v_mov_b32_e32 v85, v83
	v_pk_add_f32 v[26:27], v[84:85], v[26:27]
	v_pk_fma_f32 v[84:85], v[22:23], s[10:11], v[86:87] op_sel_hi:[1,0,1]
	v_pk_fma_f32 v[86:87], v[22:23], s[10:11], v[86:87] op_sel_hi:[1,0,1] neg_lo:[0,0,1] neg_hi:[0,0,1]
	v_pk_mul_f32 v[88:89], v[18:19], s[20:21] op_sel:[1,0] op_sel_hi:[0,0]
	v_mov_b32_e32 v81, v87
	v_mov_b32_e32 v87, v85
	v_pk_add_f32 v[26:27], v[86:87], v[26:27]
	v_pk_fma_f32 v[86:87], v[12:13], s[4:5], v[88:89] op_sel_hi:[1,0,1]
	v_pk_fma_f32 v[88:89], v[12:13], s[4:5], v[88:89] op_sel_hi:[1,0,1] neg_lo:[0,0,1] neg_hi:[0,0,1]
	v_pk_mul_f32 v[90:91], v[8:9], s[12:13] op_sel:[1,0] op_sel_hi:[0,0]
	v_mov_b32_e32 v83, v89
	v_mov_b32_e32 v89, v87
	v_pk_add_f32 v[26:27], v[88:89], v[26:27]
	v_pk_fma_f32 v[88:89], v[0:1], s[34:35], v[90:91] op_sel_hi:[1,0,1]
	v_pk_fma_f32 v[90:91], v[0:1], s[34:35], v[90:91] op_sel_hi:[1,0,1] neg_lo:[0,0,1] neg_hi:[0,0,1]
	v_add_u32_e32 v152, s11, v152
	v_mov_b32_e32 v85, v91
	v_mov_b32_e32 v91, v89
	;; [unrolled: 51-line block ×5, first 2 shown]
	v_pk_add_f32 v[26:27], v[142:143], v[26:27]
	v_lshl_add_u64 v[142:143], v[152:153], 3, v[32:33]
	global_store_dwordx2 v[142:143], v[26:27], off
	v_pk_mul_f32 v[26:27], v[58:59], s[12:13] op_sel:[1,0] op_sel_hi:[0,0]
	v_pk_fma_f32 v[148:149], v[56:57], s[34:35], v[26:27] op_sel_hi:[1,0,1]
	v_pk_fma_f32 v[26:27], v[56:57], s[34:35], v[26:27] op_sel_hi:[1,0,1] neg_lo:[0,0,1] neg_hi:[0,0,1]
	v_pk_mul_f32 v[150:151], v[30:31], s[14:15] op_sel:[1,0] op_sel_hi:[0,0]
	v_pk_fma_f32 v[142:143], v[28:29], s[2:3], v[150:151] op_sel_hi:[1,0,1]
	v_pk_fma_f32 v[150:151], v[28:29], s[2:3], v[150:151] op_sel_hi:[1,0,1] neg_lo:[0,0,1] neg_hi:[0,0,1]
	v_mov_b32_e32 v145, v27
	v_mov_b32_e32 v27, v149
	v_pk_add_f32 v[26:27], v[26:27], v[2:3]
	v_mov_b32_e32 v133, v151
	v_mov_b32_e32 v151, v143
	v_pk_add_f32 v[26:27], v[150:151], v[26:27]
	v_pk_mul_f32 v[150:151], v[6:7], s[20:21] op_sel:[1,0] op_sel_hi:[0,0]
	v_pk_fma_f32 v[154:155], v[4:5], s[4:5], v[150:151] op_sel_hi:[1,0,1]
	v_pk_fma_f32 v[150:151], v[4:5], s[4:5], v[150:151] op_sel_hi:[1,0,1] neg_lo:[0,0,1] neg_hi:[0,0,1]
	v_mov_b32_e32 v44, v60
	v_mov_b32_e32 v135, v151
	;; [unrolled: 1-line block ×3, first 2 shown]
	v_pk_add_f32 v[26:27], v[150:151], v[26:27]
	v_pk_mul_f32 v[150:151], v[20:21], s[42:43] op_sel:[1,0] op_sel_hi:[0,0]
	v_pk_fma_f32 v[156:157], v[14:15], s[30:31], v[150:151] op_sel_hi:[1,0,1]
	v_pk_fma_f32 v[150:151], v[14:15], s[30:31], v[150:151] op_sel_hi:[1,0,1] neg_lo:[0,0,1] neg_hi:[0,0,1]
	v_pk_add_f32 v[44:45], v[44:45], v[2:3]
	v_mov_b32_e32 v137, v151
	v_mov_b32_e32 v151, v157
	v_pk_add_f32 v[26:27], v[150:151], v[26:27]
	v_pk_mul_f32 v[150:151], v[16:17], s[16:17] op_sel:[1,0] op_sel_hi:[0,0]
	v_pk_fma_f32 v[158:159], v[10:11], s[10:11], v[150:151] op_sel_hi:[1,0,1]
	v_pk_fma_f32 v[150:151], v[10:11], s[10:11], v[150:151] op_sel_hi:[1,0,1] neg_lo:[0,0,1] neg_hi:[0,0,1]
	v_mov_b32_e32 v40, v38
	v_mov_b32_e32 v139, v151
	;; [unrolled: 1-line block ×3, first 2 shown]
	v_pk_add_f32 v[26:27], v[150:151], v[26:27]
	v_pk_mul_f32 v[150:151], v[24:25], s[22:23] op_sel:[1,0] op_sel_hi:[0,0]
	v_pk_fma_f32 v[160:161], v[22:23], s[48:49], v[150:151] op_sel_hi:[1,0,1]
	v_pk_fma_f32 v[150:151], v[22:23], s[48:49], v[150:151] op_sel_hi:[1,0,1] neg_lo:[0,0,1] neg_hi:[0,0,1]
	v_mov_b32_e32 v36, v34
	v_mov_b32_e32 v141, v151
	;; [unrolled: 1-line block ×3, first 2 shown]
	v_pk_add_f32 v[26:27], v[150:151], v[26:27]
	v_pk_mul_f32 v[150:151], v[18:19], s[24:25] op_sel:[1,0] op_sel_hi:[0,0]
	v_pk_fma_f32 v[162:163], v[12:13], s[8:9], v[150:151] op_sel_hi:[1,0,1]
	v_pk_fma_f32 v[150:151], v[12:13], s[8:9], v[150:151] op_sel_hi:[1,0,1] neg_lo:[0,0,1] neg_hi:[0,0,1]
	v_pk_add_f32 v[40:41], v[40:41], v[44:45]
	v_mov_b32_e32 v143, v151
	v_mov_b32_e32 v151, v163
	v_pk_add_f32 v[26:27], v[150:151], v[26:27]
	v_pk_mul_f32 v[150:151], v[8:9], s[0:1] op_sel:[1,0] op_sel_hi:[0,0]
	v_pk_fma_f32 v[164:165], v[0:1], s[28:29], v[150:151] op_sel_hi:[1,0,1]
	v_pk_fma_f32 v[150:151], v[0:1], s[28:29], v[150:151] op_sel_hi:[1,0,1] neg_lo:[0,0,1] neg_hi:[0,0,1]
	v_add_u32_e32 v152, s11, v152
	v_mov_b32_e32 v149, v151
	v_mov_b32_e32 v151, v165
	;; [unrolled: 1-line block ×3, first 2 shown]
	v_pk_add_f32 v[36:37], v[36:37], v[40:41]
	v_pk_add_f32 v[26:27], v[150:151], v[26:27]
	v_lshl_add_u64 v[150:151], v[152:153], 3, v[32:33]
	v_mov_b32_e32 v42, v46
	v_pk_add_f32 v[34:35], v[34:35], v[36:37]
	global_store_dwordx2 v[150:151], v[26:27], off
	v_pk_mul_f32 v[26:27], v[58:59], s[22:23] op_sel:[1,0] op_sel_hi:[0,0]
	v_mov_b32_e32 v46, v48
	v_pk_add_f32 v[34:35], v[42:43], v[34:35]
	v_pk_fma_f32 v[58:59], v[56:57], s[48:49], v[26:27] op_sel_hi:[1,0,1]
	v_pk_fma_f32 v[26:27], v[56:57], s[48:49], v[26:27] op_sel_hi:[1,0,1] neg_lo:[0,0,1] neg_hi:[0,0,1]
	v_mov_b32_e32 v48, v50
	v_pk_add_f32 v[34:35], v[46:47], v[34:35]
	v_pk_mul_f32 v[30:31], v[30:31], s[18:19] op_sel:[1,0] op_sel_hi:[0,0]
	v_mov_b32_e32 v56, v58
	v_mov_b32_e32 v57, v27
	;; [unrolled: 1-line block ×3, first 2 shown]
	v_pk_add_f32 v[34:35], v[48:49], v[34:35]
	v_pk_fma_f32 v[48:49], v[28:29], s[10:11], v[30:31] op_sel_hi:[1,0,1]
	v_pk_fma_f32 v[28:29], v[28:29], s[10:11], v[30:31] op_sel_hi:[1,0,1] neg_lo:[0,0,1] neg_hi:[0,0,1]
	v_pk_mul_f32 v[6:7], v[6:7], s[12:13] op_sel:[1,0] op_sel_hi:[0,0]
	v_pk_add_f32 v[56:57], v[56:57], v[2:3]
	v_pk_add_f32 v[34:35], v[50:51], v[34:35]
	v_mov_b32_e32 v30, v48
	v_mov_b32_e32 v31, v29
	v_pk_fma_f32 v[50:51], v[4:5], s[34:35], v[6:7] op_sel_hi:[1,0,1]
	v_pk_fma_f32 v[4:5], v[4:5], s[34:35], v[6:7] op_sel_hi:[1,0,1] neg_lo:[0,0,1] neg_hi:[0,0,1]
	v_pk_add_f32 v[30:31], v[30:31], v[56:57]
	v_mov_b32_e32 v6, v50
	v_mov_b32_e32 v7, v5
	v_pk_mul_f32 v[20:21], v[20:21], s[24:25] op_sel:[1,0] op_sel_hi:[0,0]
	v_pk_add_f32 v[6:7], v[6:7], v[30:31]
	v_pk_fma_f32 v[30:31], v[14:15], s[8:9], v[20:21] op_sel_hi:[1,0,1]
	v_pk_fma_f32 v[14:15], v[14:15], s[8:9], v[20:21] op_sel_hi:[1,0,1] neg_lo:[0,0,1] neg_hi:[0,0,1]
	v_mov_b32_e32 v20, v30
	v_mov_b32_e32 v21, v15
	v_pk_mul_f32 v[16:17], v[16:17], s[6:7] op_sel:[1,0] op_sel_hi:[0,0]
	v_pk_add_f32 v[6:7], v[20:21], v[6:7]
	v_pk_fma_f32 v[20:21], v[10:11], s[30:31], v[16:17] op_sel_hi:[1,0,1]
	v_pk_fma_f32 v[10:11], v[10:11], s[30:31], v[16:17] op_sel_hi:[1,0,1] neg_lo:[0,0,1] neg_hi:[0,0,1]
	v_mov_b32_e32 v60, v74
	v_mov_b32_e32 v74, v92
	;; [unrolled: 1-line block ×7, first 2 shown]
	v_add_u32_e32 v152, s11, v152
	v_mov_b32_e32 v16, v20
	v_mov_b32_e32 v17, v11
	v_pk_add_f32 v[58:59], v[60:61], v[2:3]
	v_pk_add_f32 v[60:61], v[74:75], v[2:3]
	;; [unrolled: 1-line block ×7, first 2 shown]
	v_lshl_add_u64 v[26:27], v[152:153], 3, v[32:33]
	v_add_u32_e32 v152, s11, v152
	v_pk_add_f32 v[6:7], v[16:17], v[6:7]
	v_pk_mul_f32 v[16:17], v[24:25], s[14:15] op_sel:[1,0] op_sel_hi:[0,0]
	v_mov_b32_e32 v29, v49
	v_lshl_add_u64 v[146:147], v[152:153], 3, v[32:33]
	v_add_u32_e32 v152, s11, v152
	v_mov_b32_e32 v38, v54
	v_mov_b32_e32 v52, v62
	;; [unrolled: 1-line block ×26, first 2 shown]
	v_pk_fma_f32 v[24:25], v[22:23], s[2:3], v[16:17] op_sel_hi:[1,0,1]
	v_pk_fma_f32 v[16:17], v[22:23], s[2:3], v[16:17] op_sel_hi:[1,0,1] neg_lo:[0,0,1] neg_hi:[0,0,1]
	v_pk_add_f32 v[2:3], v[28:29], v[2:3]
	v_mov_b32_e32 v5, v51
	v_lshl_add_u64 v[150:151], v[152:153], 3, v[32:33]
	v_add_u32_e32 v152, s11, v152
	v_pk_add_f32 v[36:37], v[38:39], v[58:59]
	v_pk_add_f32 v[38:39], v[70:71], v[60:61]
	v_pk_add_f32 v[40:41], v[86:87], v[74:75]
	v_mov_b32_e32 v92, v98
	v_mov_b32_e32 v98, v106
	v_pk_add_f32 v[42:43], v[100:101], v[102:103]
	v_mov_b32_e32 v106, v114
	v_mov_b32_e32 v110, v118
	;; [unrolled: 1-line block ×3, first 2 shown]
	v_pk_add_f32 v[44:45], v[116:117], v[124:125]
	v_mov_b32_e32 v118, v130
	v_mov_b32_e32 v122, v134
	v_pk_add_f32 v[46:47], v[132:133], v[144:145]
	v_mov_b32_e32 v134, v154
	v_mov_b32_e32 v22, v24
	;; [unrolled: 1-line block ×3, first 2 shown]
	v_pk_mul_f32 v[18:19], v[18:19], s[0:1] op_sel:[1,0] op_sel_hi:[0,0]
	v_pk_add_f32 v[2:3], v[4:5], v[2:3]
	v_mov_b32_e32 v15, v31
	v_lshl_add_u64 v[166:167], v[152:153], 3, v[32:33]
	v_add_u32_e32 v152, s11, v152
	v_pk_add_f32 v[36:37], v[52:53], v[36:37]
	v_pk_add_f32 v[38:39], v[72:73], v[38:39]
	;; [unrolled: 1-line block ×5, first 2 shown]
	v_mov_b32_e32 v126, v136
	v_pk_add_f32 v[46:47], v[134:135], v[46:47]
	v_mov_b32_e32 v136, v156
	v_pk_add_f32 v[6:7], v[22:23], v[6:7]
	v_pk_fma_f32 v[22:23], v[12:13], s[28:29], v[18:19] op_sel_hi:[1,0,1]
	v_pk_fma_f32 v[12:13], v[12:13], s[28:29], v[18:19] op_sel_hi:[1,0,1] neg_lo:[0,0,1] neg_hi:[0,0,1]
	v_pk_add_f32 v[2:3], v[14:15], v[2:3]
	v_mov_b32_e32 v11, v21
	v_lshl_add_u64 v[168:169], v[152:153], 3, v[32:33]
	v_add_u32_e32 v152, s11, v152
	v_pk_add_f32 v[36:37], v[54:55], v[36:37]
	v_pk_add_f32 v[38:39], v[76:77], v[38:39]
	;; [unrolled: 1-line block ×5, first 2 shown]
	v_mov_b32_e32 v128, v138
	v_pk_add_f32 v[46:47], v[136:137], v[46:47]
	v_mov_b32_e32 v138, v158
	v_mov_b32_e32 v18, v22
	;; [unrolled: 1-line block ×3, first 2 shown]
	v_pk_mul_f32 v[8:9], v[8:9], s[36:37] op_sel:[1,0] op_sel_hi:[0,0]
	v_pk_add_f32 v[2:3], v[10:11], v[2:3]
	v_mov_b32_e32 v17, v25
	v_lshl_add_u64 v[170:171], v[152:153], 3, v[32:33]
	v_add_u32_e32 v152, s11, v152
	v_pk_add_f32 v[36:37], v[62:63], v[36:37]
	v_pk_add_f32 v[38:39], v[78:79], v[38:39]
	;; [unrolled: 1-line block ×5, first 2 shown]
	v_mov_b32_e32 v130, v140
	v_pk_add_f32 v[46:47], v[138:139], v[46:47]
	v_mov_b32_e32 v140, v160
	v_pk_add_f32 v[6:7], v[18:19], v[6:7]
	v_pk_fma_f32 v[18:19], v[0:1], s[4:5], v[8:9] op_sel_hi:[1,0,1]
	v_pk_fma_f32 v[0:1], v[0:1], s[4:5], v[8:9] op_sel_hi:[1,0,1] neg_lo:[0,0,1] neg_hi:[0,0,1]
	v_pk_add_f32 v[2:3], v[16:17], v[2:3]
	v_mov_b32_e32 v13, v23
	v_lshl_add_u64 v[172:173], v[152:153], 3, v[32:33]
	v_add_u32_e32 v152, s11, v152
	v_pk_add_f32 v[36:37], v[64:65], v[36:37]
	v_pk_add_f32 v[38:39], v[80:81], v[38:39]
	;; [unrolled: 1-line block ×6, first 2 shown]
	v_mov_b32_e32 v142, v162
	v_mov_b32_e32 v9, v1
	v_pk_add_f32 v[2:3], v[12:13], v[2:3]
	v_mov_b32_e32 v1, v19
	v_lshl_add_u64 v[174:175], v[152:153], 3, v[32:33]
	v_add_u32_e32 v152, s11, v152
	v_pk_add_f32 v[36:37], v[66:67], v[36:37]
	v_pk_add_f32 v[38:39], v[82:83], v[38:39]
	;; [unrolled: 1-line block ×6, first 2 shown]
	v_mov_b32_e32 v148, v164
	v_mov_b32_e32 v8, v18
	v_pk_add_f32 v[0:1], v[0:1], v[2:3]
	v_lshl_add_u64 v[32:33], v[152:153], 3, v[32:33]
	v_pk_add_f32 v[36:37], v[68:69], v[36:37]
	v_pk_add_f32 v[38:39], v[84:85], v[38:39]
	;; [unrolled: 1-line block ×7, first 2 shown]
	global_store_dwordx2 v[26:27], v[0:1], off
	global_store_dwordx2 v[146:147], v[6:7], off
	;; [unrolled: 1-line block ×9, first 2 shown]
	s_endpgm
	.section	.rodata,"a",@progbits
	.p2align	6, 0x0
	.amdhsa_kernel fft_rtc_fwd_len289_factors_17_17_wgs_119_tpt_17_sp_op_CI_CI_sbrc_z_xy_aligned_dirReg
		.amdhsa_group_segment_fixed_size 0
		.amdhsa_private_segment_fixed_size 0
		.amdhsa_kernarg_size 104
		.amdhsa_user_sgpr_count 2
		.amdhsa_user_sgpr_dispatch_ptr 0
		.amdhsa_user_sgpr_queue_ptr 0
		.amdhsa_user_sgpr_kernarg_segment_ptr 1
		.amdhsa_user_sgpr_dispatch_id 0
		.amdhsa_user_sgpr_kernarg_preload_length 0
		.amdhsa_user_sgpr_kernarg_preload_offset 0
		.amdhsa_user_sgpr_private_segment_size 0
		.amdhsa_uses_dynamic_stack 0
		.amdhsa_enable_private_segment 0
		.amdhsa_system_sgpr_workgroup_id_x 1
		.amdhsa_system_sgpr_workgroup_id_y 0
		.amdhsa_system_sgpr_workgroup_id_z 0
		.amdhsa_system_sgpr_workgroup_info 0
		.amdhsa_system_vgpr_workitem_id 0
		.amdhsa_next_free_vgpr 290
		.amdhsa_next_free_sgpr 75
		.amdhsa_accum_offset 256
		.amdhsa_reserve_vcc 0
		.amdhsa_float_round_mode_32 0
		.amdhsa_float_round_mode_16_64 0
		.amdhsa_float_denorm_mode_32 3
		.amdhsa_float_denorm_mode_16_64 3
		.amdhsa_dx10_clamp 1
		.amdhsa_ieee_mode 1
		.amdhsa_fp16_overflow 0
		.amdhsa_tg_split 0
		.amdhsa_exception_fp_ieee_invalid_op 0
		.amdhsa_exception_fp_denorm_src 0
		.amdhsa_exception_fp_ieee_div_zero 0
		.amdhsa_exception_fp_ieee_overflow 0
		.amdhsa_exception_fp_ieee_underflow 0
		.amdhsa_exception_fp_ieee_inexact 0
		.amdhsa_exception_int_div_zero 0
	.end_amdhsa_kernel
	.text
.Lfunc_end0:
	.size	fft_rtc_fwd_len289_factors_17_17_wgs_119_tpt_17_sp_op_CI_CI_sbrc_z_xy_aligned_dirReg, .Lfunc_end0-fft_rtc_fwd_len289_factors_17_17_wgs_119_tpt_17_sp_op_CI_CI_sbrc_z_xy_aligned_dirReg
                                        ; -- End function
	.section	.AMDGPU.csdata,"",@progbits
; Kernel info:
; codeLenInByte = 12480
; NumSgprs: 81
; NumVgprs: 256
; NumAgprs: 34
; TotalNumVgprs: 290
; ScratchSize: 0
; MemoryBound: 0
; FloatMode: 240
; IeeeMode: 1
; LDSByteSize: 0 bytes/workgroup (compile time only)
; SGPRBlocks: 10
; VGPRBlocks: 36
; NumSGPRsForWavesPerEU: 81
; NumVGPRsForWavesPerEU: 290
; AccumOffset: 256
; Occupancy: 1
; WaveLimiterHint : 1
; COMPUTE_PGM_RSRC2:SCRATCH_EN: 0
; COMPUTE_PGM_RSRC2:USER_SGPR: 2
; COMPUTE_PGM_RSRC2:TRAP_HANDLER: 0
; COMPUTE_PGM_RSRC2:TGID_X_EN: 1
; COMPUTE_PGM_RSRC2:TGID_Y_EN: 0
; COMPUTE_PGM_RSRC2:TGID_Z_EN: 0
; COMPUTE_PGM_RSRC2:TIDIG_COMP_CNT: 0
; COMPUTE_PGM_RSRC3_GFX90A:ACCUM_OFFSET: 63
; COMPUTE_PGM_RSRC3_GFX90A:TG_SPLIT: 0
	.text
	.p2alignl 6, 3212836864
	.fill 256, 4, 3212836864
	.type	__hip_cuid_d52326dc879d6d62,@object ; @__hip_cuid_d52326dc879d6d62
	.section	.bss,"aw",@nobits
	.globl	__hip_cuid_d52326dc879d6d62
__hip_cuid_d52326dc879d6d62:
	.byte	0                               ; 0x0
	.size	__hip_cuid_d52326dc879d6d62, 1

	.ident	"AMD clang version 19.0.0git (https://github.com/RadeonOpenCompute/llvm-project roc-6.4.0 25133 c7fe45cf4b819c5991fe208aaa96edf142730f1d)"
	.section	".note.GNU-stack","",@progbits
	.addrsig
	.addrsig_sym __hip_cuid_d52326dc879d6d62
	.amdgpu_metadata
---
amdhsa.kernels:
  - .agpr_count:     34
    .args:
      - .actual_access:  read_only
        .address_space:  global
        .offset:         0
        .size:           8
        .value_kind:     global_buffer
      - .offset:         8
        .size:           8
        .value_kind:     by_value
      - .actual_access:  read_only
        .address_space:  global
        .offset:         16
        .size:           8
        .value_kind:     global_buffer
      - .actual_access:  read_only
        .address_space:  global
        .offset:         24
        .size:           8
        .value_kind:     global_buffer
      - .actual_access:  read_only
        .address_space:  global
        .offset:         32
        .size:           8
        .value_kind:     global_buffer
      - .offset:         40
        .size:           8
        .value_kind:     by_value
      - .actual_access:  read_only
        .address_space:  global
        .offset:         48
        .size:           8
        .value_kind:     global_buffer
      - .actual_access:  read_only
        .address_space:  global
        .offset:         56
        .size:           8
        .value_kind:     global_buffer
      - .offset:         64
        .size:           4
        .value_kind:     by_value
      - .actual_access:  read_only
        .address_space:  global
        .offset:         72
        .size:           8
        .value_kind:     global_buffer
      - .actual_access:  read_only
        .address_space:  global
        .offset:         80
        .size:           8
        .value_kind:     global_buffer
      - .actual_access:  read_only
        .address_space:  global
        .offset:         88
        .size:           8
        .value_kind:     global_buffer
      - .actual_access:  write_only
        .address_space:  global
        .offset:         96
        .size:           8
        .value_kind:     global_buffer
    .group_segment_fixed_size: 0
    .kernarg_segment_align: 8
    .kernarg_segment_size: 104
    .language:       OpenCL C
    .language_version:
      - 2
      - 0
    .max_flat_workgroup_size: 119
    .name:           fft_rtc_fwd_len289_factors_17_17_wgs_119_tpt_17_sp_op_CI_CI_sbrc_z_xy_aligned_dirReg
    .private_segment_fixed_size: 0
    .sgpr_count:     81
    .sgpr_spill_count: 0
    .symbol:         fft_rtc_fwd_len289_factors_17_17_wgs_119_tpt_17_sp_op_CI_CI_sbrc_z_xy_aligned_dirReg.kd
    .uniform_work_group_size: 1
    .uses_dynamic_stack: false
    .vgpr_count:     290
    .vgpr_spill_count: 0
    .wavefront_size: 64
amdhsa.target:   amdgcn-amd-amdhsa--gfx950
amdhsa.version:
  - 1
  - 2
...

	.end_amdgpu_metadata
